;; amdgpu-corpus repo=ROCm/rocFFT kind=compiled arch=gfx906 opt=O3
	.text
	.amdgcn_target "amdgcn-amd-amdhsa--gfx906"
	.amdhsa_code_object_version 6
	.protected	fft_rtc_back_len595_factors_7_17_5_wgs_51_tpt_17_halfLds_half_ip_CI_sbrr_dirReg ; -- Begin function fft_rtc_back_len595_factors_7_17_5_wgs_51_tpt_17_halfLds_half_ip_CI_sbrr_dirReg
	.globl	fft_rtc_back_len595_factors_7_17_5_wgs_51_tpt_17_halfLds_half_ip_CI_sbrr_dirReg
	.p2align	8
	.type	fft_rtc_back_len595_factors_7_17_5_wgs_51_tpt_17_halfLds_half_ip_CI_sbrr_dirReg,@function
fft_rtc_back_len595_factors_7_17_5_wgs_51_tpt_17_halfLds_half_ip_CI_sbrr_dirReg: ; @fft_rtc_back_len595_factors_7_17_5_wgs_51_tpt_17_halfLds_half_ip_CI_sbrr_dirReg
; %bb.0:
	s_load_dwordx2 s[14:15], s[4:5], 0x18
	s_load_dwordx4 s[8:11], s[4:5], 0x0
	s_load_dwordx2 s[12:13], s[4:5], 0x50
	v_mul_u32_u24_e32 v1, 0xf10, v0
	v_lshrrev_b32_e32 v1, 16, v1
	s_waitcnt lgkmcnt(0)
	s_load_dwordx2 s[2:3], s[14:15], 0x0
	v_mad_u64_u32 v[1:2], s[0:1], s6, 3, v[1:2]
	v_mov_b32_e32 v5, 0
	v_cmp_lt_u64_e64 s[0:1], s[10:11], 2
	v_mov_b32_e32 v2, v5
	v_mov_b32_e32 v3, 0
	;; [unrolled: 1-line block ×3, first 2 shown]
	s_and_b64 vcc, exec, s[0:1]
	v_mov_b32_e32 v4, 0
	v_mov_b32_e32 v9, v1
	s_cbranch_vccnz .LBB0_8
; %bb.1:
	s_load_dwordx2 s[0:1], s[4:5], 0x10
	s_add_u32 s6, s14, 8
	s_addc_u32 s7, s15, 0
	v_mov_b32_e32 v3, 0
	v_mov_b32_e32 v8, v2
	s_waitcnt lgkmcnt(0)
	s_add_u32 s18, s0, 8
	s_mov_b64 s[16:17], 1
	v_mov_b32_e32 v4, 0
	s_addc_u32 s19, s1, 0
	v_mov_b32_e32 v7, v1
.LBB0_2:                                ; =>This Inner Loop Header: Depth=1
	s_load_dwordx2 s[20:21], s[18:19], 0x0
                                        ; implicit-def: $vgpr9_vgpr10
	s_waitcnt lgkmcnt(0)
	v_or_b32_e32 v6, s21, v8
	v_cmp_ne_u64_e32 vcc, 0, v[5:6]
	s_and_saveexec_b64 s[0:1], vcc
	s_xor_b64 s[22:23], exec, s[0:1]
	s_cbranch_execz .LBB0_4
; %bb.3:                                ;   in Loop: Header=BB0_2 Depth=1
	v_cvt_f32_u32_e32 v2, s20
	v_cvt_f32_u32_e32 v6, s21
	s_sub_u32 s0, 0, s20
	s_subb_u32 s1, 0, s21
	v_mac_f32_e32 v2, 0x4f800000, v6
	v_rcp_f32_e32 v2, v2
	v_mul_f32_e32 v2, 0x5f7ffffc, v2
	v_mul_f32_e32 v6, 0x2f800000, v2
	v_trunc_f32_e32 v6, v6
	v_mac_f32_e32 v2, 0xcf800000, v6
	v_cvt_u32_f32_e32 v6, v6
	v_cvt_u32_f32_e32 v2, v2
	v_mul_lo_u32 v9, s0, v6
	v_mul_hi_u32 v10, s0, v2
	v_mul_lo_u32 v12, s1, v2
	v_mul_lo_u32 v11, s0, v2
	v_add_u32_e32 v9, v10, v9
	v_add_u32_e32 v9, v9, v12
	v_mul_hi_u32 v10, v2, v11
	v_mul_lo_u32 v12, v2, v9
	v_mul_hi_u32 v14, v2, v9
	v_mul_hi_u32 v13, v6, v11
	v_mul_lo_u32 v11, v6, v11
	v_mul_hi_u32 v15, v6, v9
	v_add_co_u32_e32 v10, vcc, v10, v12
	v_addc_co_u32_e32 v12, vcc, 0, v14, vcc
	v_mul_lo_u32 v9, v6, v9
	v_add_co_u32_e32 v10, vcc, v10, v11
	v_addc_co_u32_e32 v10, vcc, v12, v13, vcc
	v_addc_co_u32_e32 v11, vcc, 0, v15, vcc
	v_add_co_u32_e32 v9, vcc, v10, v9
	v_addc_co_u32_e32 v10, vcc, 0, v11, vcc
	v_add_co_u32_e32 v2, vcc, v2, v9
	v_addc_co_u32_e32 v6, vcc, v6, v10, vcc
	v_mul_lo_u32 v9, s0, v6
	v_mul_hi_u32 v10, s0, v2
	v_mul_lo_u32 v11, s1, v2
	v_mul_lo_u32 v12, s0, v2
	v_add_u32_e32 v9, v10, v9
	v_add_u32_e32 v9, v9, v11
	v_mul_lo_u32 v13, v2, v9
	v_mul_hi_u32 v14, v2, v12
	v_mul_hi_u32 v15, v2, v9
	;; [unrolled: 1-line block ×3, first 2 shown]
	v_mul_lo_u32 v12, v6, v12
	v_mul_hi_u32 v10, v6, v9
	v_add_co_u32_e32 v13, vcc, v14, v13
	v_addc_co_u32_e32 v14, vcc, 0, v15, vcc
	v_mul_lo_u32 v9, v6, v9
	v_add_co_u32_e32 v12, vcc, v13, v12
	v_addc_co_u32_e32 v11, vcc, v14, v11, vcc
	v_addc_co_u32_e32 v10, vcc, 0, v10, vcc
	v_add_co_u32_e32 v9, vcc, v11, v9
	v_addc_co_u32_e32 v10, vcc, 0, v10, vcc
	v_add_co_u32_e32 v2, vcc, v2, v9
	v_addc_co_u32_e32 v6, vcc, v6, v10, vcc
	v_mad_u64_u32 v[9:10], s[0:1], v7, v6, 0
	v_mul_hi_u32 v11, v7, v2
	v_add_co_u32_e32 v13, vcc, v11, v9
	v_addc_co_u32_e32 v14, vcc, 0, v10, vcc
	v_mad_u64_u32 v[9:10], s[0:1], v8, v2, 0
	v_mad_u64_u32 v[11:12], s[0:1], v8, v6, 0
	v_add_co_u32_e32 v2, vcc, v13, v9
	v_addc_co_u32_e32 v2, vcc, v14, v10, vcc
	v_addc_co_u32_e32 v6, vcc, 0, v12, vcc
	v_add_co_u32_e32 v2, vcc, v2, v11
	v_addc_co_u32_e32 v6, vcc, 0, v6, vcc
	v_mul_lo_u32 v11, s21, v2
	v_mul_lo_u32 v12, s20, v6
	v_mad_u64_u32 v[9:10], s[0:1], s20, v2, 0
	v_add3_u32 v10, v10, v12, v11
	v_sub_u32_e32 v11, v8, v10
	v_mov_b32_e32 v12, s21
	v_sub_co_u32_e32 v9, vcc, v7, v9
	v_subb_co_u32_e64 v11, s[0:1], v11, v12, vcc
	v_subrev_co_u32_e64 v12, s[0:1], s20, v9
	v_subbrev_co_u32_e64 v11, s[0:1], 0, v11, s[0:1]
	v_cmp_le_u32_e64 s[0:1], s21, v11
	v_cndmask_b32_e64 v13, 0, -1, s[0:1]
	v_cmp_le_u32_e64 s[0:1], s20, v12
	v_cndmask_b32_e64 v12, 0, -1, s[0:1]
	v_cmp_eq_u32_e64 s[0:1], s21, v11
	v_cndmask_b32_e64 v11, v13, v12, s[0:1]
	v_add_co_u32_e64 v12, s[0:1], 2, v2
	v_addc_co_u32_e64 v13, s[0:1], 0, v6, s[0:1]
	v_add_co_u32_e64 v14, s[0:1], 1, v2
	v_addc_co_u32_e64 v15, s[0:1], 0, v6, s[0:1]
	v_subb_co_u32_e32 v10, vcc, v8, v10, vcc
	v_cmp_ne_u32_e64 s[0:1], 0, v11
	v_cmp_le_u32_e32 vcc, s21, v10
	v_cndmask_b32_e64 v11, v15, v13, s[0:1]
	v_cndmask_b32_e64 v13, 0, -1, vcc
	v_cmp_le_u32_e32 vcc, s20, v9
	v_cndmask_b32_e64 v9, 0, -1, vcc
	v_cmp_eq_u32_e32 vcc, s21, v10
	v_cndmask_b32_e32 v9, v13, v9, vcc
	v_cmp_ne_u32_e32 vcc, 0, v9
	v_cndmask_b32_e32 v10, v6, v11, vcc
	v_cndmask_b32_e64 v6, v14, v12, s[0:1]
	v_cndmask_b32_e32 v9, v2, v6, vcc
.LBB0_4:                                ;   in Loop: Header=BB0_2 Depth=1
	s_andn2_saveexec_b64 s[0:1], s[22:23]
	s_cbranch_execz .LBB0_6
; %bb.5:                                ;   in Loop: Header=BB0_2 Depth=1
	v_cvt_f32_u32_e32 v2, s20
	s_sub_i32 s22, 0, s20
	v_rcp_iflag_f32_e32 v2, v2
	v_mul_f32_e32 v2, 0x4f7ffffe, v2
	v_cvt_u32_f32_e32 v2, v2
	v_mul_lo_u32 v6, s22, v2
	v_mul_hi_u32 v6, v2, v6
	v_add_u32_e32 v2, v2, v6
	v_mul_hi_u32 v2, v7, v2
	v_mul_lo_u32 v6, v2, s20
	v_add_u32_e32 v9, 1, v2
	v_sub_u32_e32 v6, v7, v6
	v_subrev_u32_e32 v10, s20, v6
	v_cmp_le_u32_e32 vcc, s20, v6
	v_cndmask_b32_e32 v6, v6, v10, vcc
	v_cndmask_b32_e32 v2, v2, v9, vcc
	v_add_u32_e32 v9, 1, v2
	v_cmp_le_u32_e32 vcc, s20, v6
	v_cndmask_b32_e32 v9, v2, v9, vcc
	v_mov_b32_e32 v10, v5
.LBB0_6:                                ;   in Loop: Header=BB0_2 Depth=1
	s_or_b64 exec, exec, s[0:1]
	v_mul_lo_u32 v2, v10, s20
	v_mul_lo_u32 v6, v9, s21
	v_mad_u64_u32 v[11:12], s[0:1], v9, s20, 0
	s_load_dwordx2 s[0:1], s[6:7], 0x0
	s_add_u32 s16, s16, 1
	v_add3_u32 v2, v12, v6, v2
	v_sub_co_u32_e32 v6, vcc, v7, v11
	v_subb_co_u32_e32 v2, vcc, v8, v2, vcc
	s_waitcnt lgkmcnt(0)
	v_mul_lo_u32 v2, s0, v2
	v_mul_lo_u32 v7, s1, v6
	v_mad_u64_u32 v[3:4], s[0:1], s0, v6, v[3:4]
	s_addc_u32 s17, s17, 0
	s_add_u32 s6, s6, 8
	v_add3_u32 v4, v7, v4, v2
	v_mov_b32_e32 v6, s10
	v_mov_b32_e32 v7, s11
	s_addc_u32 s7, s7, 0
	v_cmp_ge_u64_e32 vcc, s[16:17], v[6:7]
	s_add_u32 s18, s18, 8
	s_addc_u32 s19, s19, 0
	s_cbranch_vccnz .LBB0_8
; %bb.7:                                ;   in Loop: Header=BB0_2 Depth=1
	v_mov_b32_e32 v7, v9
	v_mov_b32_e32 v8, v10
	s_branch .LBB0_2
.LBB0_8:
	s_lshl_b64 s[0:1], s[10:11], 3
	s_add_u32 s0, s14, s0
	s_addc_u32 s1, s15, s1
	s_load_dwordx2 s[6:7], s[0:1], 0x0
	s_load_dwordx2 s[10:11], s[4:5], 0x20
                                        ; implicit-def: $vgpr12
                                        ; implicit-def: $vgpr14
                                        ; implicit-def: $vgpr15
                                        ; implicit-def: $vgpr13
	s_waitcnt lgkmcnt(0)
	v_mad_u64_u32 v[2:3], s[0:1], s6, v9, v[3:4]
	s_mov_b32 s0, 0xf0f0f10
	v_mul_hi_u32 v4, v0, s0
	v_mul_lo_u32 v5, s6, v10
	v_mul_lo_u32 v6, s7, v9
	v_cmp_gt_u64_e32 vcc, s[10:11], v[9:10]
	v_mul_u32_u24_e32 v4, 17, v4
	v_cmp_le_u64_e64 s[0:1], s[10:11], v[9:10]
	v_sub_u32_e32 v8, v0, v4
	v_add3_u32 v3, v6, v3, v5
	v_add_u32_e32 v11, 17, v8
	v_add_u32_e32 v10, 34, v8
	;; [unrolled: 1-line block ×3, first 2 shown]
                                        ; implicit-def: $sgpr6
	s_and_saveexec_b64 s[4:5], s[0:1]
	s_xor_b64 s[0:1], exec, s[4:5]
; %bb.9:
	v_add_u32_e32 v12, 17, v8
	v_add_u32_e32 v14, 34, v8
	;; [unrolled: 1-line block ×4, first 2 shown]
	s_mov_b32 s6, 0
; %bb.10:
	s_or_saveexec_b64 s[4:5], s[0:1]
	v_lshlrev_b64 v[4:5], 2, v[2:3]
	v_mov_b32_e32 v6, s6
	v_mov_b32_e32 v3, s6
	;; [unrolled: 1-line block ×20, first 2 shown]
                                        ; implicit-def: $vgpr92
                                        ; implicit-def: $vgpr7
                                        ; implicit-def: $vgpr93
                                        ; implicit-def: $vgpr57
                                        ; implicit-def: $vgpr89
                                        ; implicit-def: $vgpr94
                                        ; implicit-def: $vgpr85
                                        ; implicit-def: $vgpr95
                                        ; implicit-def: $vgpr36
                                        ; implicit-def: $vgpr97
                                        ; implicit-def: $vgpr81
                                        ; implicit-def: $vgpr82
                                        ; implicit-def: $vgpr83
                                        ; implicit-def: $vgpr84
                                        ; implicit-def: $vgpr86
                                        ; implicit-def: $vgpr88
                                        ; implicit-def: $vgpr98
                                        ; implicit-def: $vgpr99
                                        ; implicit-def: $vgpr101
                                        ; implicit-def: $vgpr102
	s_xor_b64 exec, exec, s[4:5]
	s_cbranch_execz .LBB0_12
; %bb.11:
	v_mad_u64_u32 v[2:3], s[0:1], s2, v8, 0
	v_mov_b32_e32 v12, s13
	v_add_u32_e32 v36, 0xbb, v8
	v_mov_b32_e32 v0, v3
	v_mad_u64_u32 v[6:7], s[0:1], s3, v8, v[0:1]
	v_add_u32_e32 v7, 0x55, v8
	v_mad_u64_u32 v[13:14], s[0:1], s2, v7, 0
	v_mov_b32_e32 v3, v6
	v_add_co_u32_e64 v0, s[0:1], s12, v4
	v_mov_b32_e32 v6, v14
	v_addc_co_u32_e64 v12, s[0:1], v12, v5, s[0:1]
	v_mad_u64_u32 v[6:7], s[0:1], s3, v7, v[6:7]
	v_add_u32_e32 v7, 0xaa, v8
	v_mad_u64_u32 v[15:16], s[0:1], s2, v7, 0
	v_lshlrev_b64 v[2:3], 2, v[2:3]
	v_mov_b32_e32 v14, v6
	v_add_co_u32_e64 v17, s[0:1], v0, v2
	v_mov_b32_e32 v6, v16
	v_addc_co_u32_e64 v18, s[0:1], v12, v3, s[0:1]
	v_mad_u64_u32 v[6:7], s[0:1], s3, v7, v[6:7]
	v_add_u32_e32 v7, 0xff, v8
	v_lshlrev_b64 v[2:3], 2, v[13:14]
	v_mad_u64_u32 v[13:14], s[0:1], s2, v7, 0
	v_add_co_u32_e64 v20, s[0:1], v0, v2
	v_mov_b32_e32 v16, v6
	v_mov_b32_e32 v6, v14
	v_addc_co_u32_e64 v21, s[0:1], v12, v3, s[0:1]
	v_mad_u64_u32 v[6:7], s[0:1], s3, v7, v[6:7]
	v_add_u32_e32 v7, 0x154, v8
	v_lshlrev_b64 v[2:3], 2, v[15:16]
	v_mad_u64_u32 v[15:16], s[0:1], s2, v7, 0
	v_add_co_u32_e64 v22, s[0:1], v0, v2
	v_mov_b32_e32 v14, v6
	;; [unrolled: 8-line block ×4, first 2 shown]
	v_mov_b32_e32 v6, v16
	v_addc_co_u32_e64 v27, s[0:1], v12, v3, s[0:1]
	v_lshlrev_b64 v[2:3], 2, v[13:14]
	v_mad_u64_u32 v[6:7], s[0:1], s3, v7, v[6:7]
	v_mad_u64_u32 v[13:14], s[0:1], s2, v11, 0
	v_add_co_u32_e64 v28, s[0:1], v0, v2
	v_mov_b32_e32 v16, v6
	v_mov_b32_e32 v6, v14
	v_addc_co_u32_e64 v29, s[0:1], v12, v3, s[0:1]
	v_mad_u64_u32 v[6:7], s[0:1], s3, v11, v[6:7]
	v_lshlrev_b64 v[2:3], 2, v[15:16]
	v_add_co_u32_e64 v30, s[0:1], v0, v2
	v_mov_b32_e32 v14, v6
	v_add_u32_e32 v6, 0x66, v8
	v_addc_co_u32_e64 v31, s[0:1], v12, v3, s[0:1]
	v_lshlrev_b64 v[2:3], 2, v[13:14]
	v_mad_u64_u32 v[13:14], s[0:1], s2, v6, 0
	v_add_co_u32_e64 v32, s[0:1], v0, v2
	v_mov_b32_e32 v2, v14
	v_addc_co_u32_e64 v33, s[0:1], v12, v3, s[0:1]
	v_mad_u64_u32 v[14:15], s[0:1], s3, v6, v[2:3]
	global_load_dword v3, v[17:18], off
	global_load_dword v6, v[20:21], off
	;; [unrolled: 1-line block ×8, first 2 shown]
	v_mad_u64_u32 v[34:35], s[0:1], s2, v36, 0
	v_add_u32_e32 v22, 0x110, v8
	v_mad_u64_u32 v[20:21], s[0:1], s2, v22, 0
	v_lshlrev_b64 v[13:14], 2, v[13:14]
	v_mov_b32_e32 v15, v35
	v_add_u32_e32 v26, 0x165, v8
	s_waitcnt vmcnt(3)
	v_mad_u64_u32 v[17:18], s[0:1], s3, v36, v[15:16]
	v_add_co_u32_e64 v13, s[0:1], v0, v13
	v_mov_b32_e32 v15, v21
	v_addc_co_u32_e64 v14, s[0:1], v12, v14, s[0:1]
	v_mad_u64_u32 v[21:22], s[0:1], s3, v22, v[15:16]
	v_mad_u64_u32 v[22:23], s[0:1], s2, v26, 0
	v_mov_b32_e32 v35, v17
	v_lshlrev_b64 v[17:18], 2, v[34:35]
	v_mov_b32_e32 v15, v23
	v_add_co_u32_e64 v24, s[0:1], v0, v17
	v_addc_co_u32_e64 v25, s[0:1], v12, v18, s[0:1]
	v_lshlrev_b64 v[17:18], 2, v[20:21]
	v_mad_u64_u32 v[20:21], s[0:1], s3, v26, v[15:16]
	v_add_u32_e32 v21, 0x1ba, v8
	v_mad_u64_u32 v[26:27], s[0:1], s2, v21, 0
	v_add_co_u32_e64 v28, s[0:1], v0, v17
	v_mov_b32_e32 v23, v20
	v_mov_b32_e32 v15, v27
	v_addc_co_u32_e64 v29, s[0:1], v12, v18, s[0:1]
	v_lshlrev_b64 v[17:18], 2, v[22:23]
	v_mad_u64_u32 v[20:21], s[0:1], s3, v21, v[15:16]
	v_add_u32_e32 v23, 0x20f, v8
	v_mad_u64_u32 v[21:22], s[0:1], s2, v23, 0
	v_add_co_u32_e64 v30, s[0:1], v0, v17
	v_mov_b32_e32 v27, v20
	v_addc_co_u32_e64 v31, s[0:1], v12, v18, s[0:1]
	v_lshlrev_b64 v[17:18], 2, v[26:27]
	v_mov_b32_e32 v15, v22
	v_mad_u64_u32 v[26:27], s[0:1], s2, v10, 0
	v_mad_u64_u32 v[22:23], s[0:1], s3, v23, v[15:16]
	v_add_co_u32_e64 v32, s[0:1], v0, v17
	v_mov_b32_e32 v15, v27
	v_addc_co_u32_e64 v33, s[0:1], v12, v18, s[0:1]
	v_lshlrev_b64 v[17:18], 2, v[21:22]
	v_mad_u64_u32 v[20:21], s[0:1], s3, v10, v[15:16]
	v_add_u32_e32 v23, 0x77, v8
	v_mad_u64_u32 v[21:22], s[0:1], s2, v23, 0
	v_add_co_u32_e64 v34, s[0:1], v0, v17
	v_mov_b32_e32 v15, v22
	v_addc_co_u32_e64 v35, s[0:1], v12, v18, s[0:1]
	v_mov_b32_e32 v27, v20
	v_mad_u64_u32 v[22:23], s[0:1], s3, v23, v[15:16]
	v_lshlrev_b64 v[17:18], 2, v[26:27]
	v_add_u32_e32 v20, 0xcc, v8
	v_add_co_u32_e64 v26, s[0:1], v0, v17
	v_addc_co_u32_e64 v27, s[0:1], v12, v18, s[0:1]
	v_lshlrev_b64 v[17:18], 2, v[21:22]
	v_mad_u64_u32 v[21:22], s[0:1], s2, v20, 0
	v_add_co_u32_e64 v37, s[0:1], v0, v17
	v_addc_co_u32_e64 v38, s[0:1], v12, v18, s[0:1]
	v_add_u32_e32 v18, 0x121, v8
	v_mov_b32_e32 v15, v22
	v_mad_u64_u32 v[39:40], s[0:1], s2, v18, 0
	v_mad_u64_u32 v[22:23], s[0:1], s3, v20, v[15:16]
	v_mov_b32_e32 v15, v40
	global_load_dword v23, v[13:14], off
	global_load_dword v50, v[24:25], off
	;; [unrolled: 1-line block ×8, first 2 shown]
	v_lshlrev_b64 v[13:14], 2, v[21:22]
	v_mad_u64_u32 v[21:22], s[0:1], s3, v18, v[15:16]
	v_add_u32_e32 v18, 0x176, v8
	v_mad_u64_u32 v[24:25], s[0:1], s2, v18, 0
	v_add_co_u32_e64 v13, s[0:1], v0, v13
	v_mov_b32_e32 v15, v25
	v_addc_co_u32_e64 v14, s[0:1], v12, v14, s[0:1]
	v_mad_u64_u32 v[25:26], s[0:1], s3, v18, v[15:16]
	v_add_u32_e32 v18, 0x1cb, v8
	v_mad_u64_u32 v[26:27], s[0:1], s2, v18, 0
	v_mov_b32_e32 v40, v21
	v_lshlrev_b64 v[21:22], 2, v[39:40]
	v_mov_b32_e32 v15, v27
	v_add_co_u32_e64 v21, s[0:1], v0, v21
	v_addc_co_u32_e64 v22, s[0:1], v12, v22, s[0:1]
	v_mad_u64_u32 v[27:28], s[0:1], s3, v18, v[15:16]
	v_or_b32_e32 v18, 0x220, v8
	v_mad_u64_u32 v[28:29], s[0:1], s2, v18, 0
	v_lshlrev_b64 v[24:25], 2, v[24:25]
	v_lshlrev_b64 v[26:27], 2, v[26:27]
	v_add_co_u32_e64 v24, s[0:1], v0, v24
	v_mov_b32_e32 v15, v29
	v_addc_co_u32_e64 v25, s[0:1], v12, v25, s[0:1]
	v_mad_u64_u32 v[29:30], s[0:1], s3, v18, v[15:16]
	v_add_co_u32_e64 v26, s[0:1], v0, v26
	v_addc_co_u32_e64 v27, s[0:1], v12, v27, s[0:1]
	v_mad_u64_u32 v[30:31], s[0:1], s2, v9, 0
	v_lshlrev_b64 v[28:29], 2, v[28:29]
	v_add_u32_e32 v35, 0x198, v8
	v_add_co_u32_e64 v28, s[0:1], v0, v28
	v_mov_b32_e32 v15, v31
	v_addc_co_u32_e64 v29, s[0:1], v12, v29, s[0:1]
	v_mad_u64_u32 v[31:32], s[0:1], s3, v9, v[15:16]
	v_add_u32_e32 v15, 0x88, v8
	global_load_dword v77, v[13:14], off
	global_load_dword v58, v[21:22], off
	;; [unrolled: 1-line block ×5, first 2 shown]
	v_mad_u64_u32 v[21:22], s[0:1], s2, v15, 0
	v_lshlrev_b64 v[13:14], 2, v[30:31]
	v_add_u32_e32 v32, 0xdd, v8
	v_add_co_u32_e64 v24, s[0:1], v0, v13
	v_mov_b32_e32 v13, v22
	v_addc_co_u32_e64 v25, s[0:1], v12, v14, s[0:1]
	v_mad_u64_u32 v[13:14], s[0:1], s3, v15, v[13:14]
	v_add_u32_e32 v30, 0x132, v8
	v_mad_u64_u32 v[14:15], s[0:1], s2, v32, 0
	v_mad_u64_u32 v[26:27], s[0:1], s2, v30, 0
	v_mov_b32_e32 v22, v13
	v_mov_b32_e32 v13, v15
	v_mov_b32_e32 v15, v27
	v_lshlrev_b64 v[28:29], 2, v[21:22]
	v_mad_u64_u32 v[21:22], s[0:1], s3, v30, v[15:16]
	v_add_u32_e32 v15, 0x187, v8
	v_mad_u64_u32 v[30:31], s[0:1], s2, v15, 0
	v_mad_u64_u32 v[32:33], s[0:1], s3, v32, v[13:14]
	v_mov_b32_e32 v27, v21
	v_mov_b32_e32 v13, v31
	v_lshlrev_b64 v[21:22], 2, v[26:27]
	v_mad_u64_u32 v[26:27], s[0:1], s3, v15, v[13:14]
	v_add_u32_e32 v15, 0x1dc, v8
	v_mad_u64_u32 v[33:34], s[0:1], s2, v15, 0
	v_add_co_u32_e64 v37, s[0:1], v0, v21
	v_mov_b32_e32 v13, v34
	v_addc_co_u32_e64 v38, s[0:1], v12, v22, s[0:1]
	v_mov_b32_e32 v31, v26
	v_mad_u64_u32 v[26:27], s[0:1], s3, v15, v[13:14]
	v_add_u32_e32 v15, 0x231, v8
	v_lshlrev_b64 v[21:22], 2, v[30:31]
	v_mad_u64_u32 v[30:31], s[0:1], s2, v15, 0
	v_add_co_u32_e64 v39, s[0:1], v0, v21
	v_mov_b32_e32 v13, v31
	v_addc_co_u32_e64 v40, s[0:1], v12, v22, s[0:1]
	v_mov_b32_e32 v34, v26
	v_mad_u64_u32 v[26:27], s[0:1], s3, v15, v[13:14]
	v_add_u32_e32 v13, 0x44, v8
	v_lshlrev_b64 v[21:22], 2, v[33:34]
	;; [unrolled: 8-line block ×5, first 2 shown]
	v_mad_u64_u32 v[30:31], s[0:1], s2, v27, 0
	v_add_co_u32_e64 v48, s[0:1], v0, v21
	v_mov_b32_e32 v15, v31
	v_addc_co_u32_e64 v49, s[0:1], v12, v22, s[0:1]
	v_mov_b32_e32 v34, v26
	v_mad_u64_u32 v[26:27], s[0:1], s3, v27, v[15:16]
	v_lshlrev_b64 v[21:22], 2, v[33:34]
	s_waitcnt vmcnt(15)
	v_lshrrev_b32_e32 v92, 16, v54
	v_add_co_u32_e64 v33, s[0:1], v0, v21
	v_addc_co_u32_e64 v34, s[0:1], v12, v22, s[0:1]
	v_mov_b32_e32 v31, v26
	v_mad_u64_u32 v[26:27], s[0:1], s2, v35, 0
	v_lshlrev_b64 v[21:22], 2, v[30:31]
	s_waitcnt vmcnt(8)
	v_lshrrev_b32_e32 v97, 16, v56
	v_add_co_u32_e64 v30, s[0:1], v0, v21
	v_mov_b32_e32 v15, v27
	v_addc_co_u32_e64 v31, s[0:1], v12, v22, s[0:1]
	v_mad_u64_u32 v[21:22], s[0:1], s3, v35, v[15:16]
	v_add_u32_e32 v35, 0x1ed, v8
	v_mad_u64_u32 v[51:52], s[0:1], s2, v35, 0
	v_mov_b32_e32 v27, v21
	v_add_u32_e32 v21, 0x242, v8
	global_load_dword v60, v[37:38], off
	global_load_dword v22, v[39:40], off
	;; [unrolled: 1-line block ×8, first 2 shown]
	v_mov_b32_e32 v15, v52
	v_mad_u64_u32 v[33:34], s[0:1], s2, v21, 0
	v_mad_u64_u32 v[30:31], s[0:1], s3, v35, v[15:16]
	v_lshlrev_b64 v[26:27], 2, v[26:27]
	v_mov_b32_e32 v15, v34
	v_add_co_u32_e64 v26, s[0:1], v0, v26
	v_addc_co_u32_e64 v27, s[0:1], v12, v27, s[0:1]
	v_mov_b32_e32 v52, v30
	v_mad_u64_u32 v[34:35], s[0:1], s3, v21, v[15:16]
	v_lshlrev_b64 v[30:31], 2, v[51:52]
	v_mov_b32_e32 v15, v32
	v_add_co_u32_e64 v30, s[0:1], v0, v30
	v_addc_co_u32_e64 v31, s[0:1], v12, v31, s[0:1]
	global_load_dword v21, v[26:27], off
	global_load_dword v35, v[30:31], off
	v_lshlrev_b64 v[26:27], 2, v[33:34]
	v_lshlrev_b64 v[14:15], 2, v[14:15]
	v_add_co_u32_e64 v26, s[0:1], v0, v26
	v_addc_co_u32_e64 v27, s[0:1], v12, v27, s[0:1]
	global_load_dword v89, v[26:27], off
	v_add_co_u32_e64 v26, s[0:1], v0, v28
	v_addc_co_u32_e64 v27, s[0:1], v12, v29, s[0:1]
	v_add_co_u32_e64 v14, s[0:1], v0, v14
	v_addc_co_u32_e64 v15, s[0:1], v12, v15, s[0:1]
	global_load_dword v80, v[24:25], off
	global_load_dword v96, v[26:27], off
	;; [unrolled: 1-line block ×3, first 2 shown]
	s_mov_b32 s0, 0x5040100
	s_mov_b32 s1, 0x7060302
	s_waitcnt vmcnt(15)
	v_lshrrev_b32_e32 v93, 16, v59
	v_perm_b32 v86, v59, v58, s0
	s_waitcnt vmcnt(14)
	v_perm_b32 v88, v57, v58, s1
	v_perm_b32 v98, v56, v55, s0
	;; [unrolled: 1-line block ×5, first 2 shown]
	v_mov_b32_e32 v15, v9
	v_mov_b32_e32 v14, v10
	;; [unrolled: 1-line block ×3, first 2 shown]
	s_waitcnt vmcnt(11)
	v_lshrrev_b32_e32 v95, 16, v61
	v_perm_b32 v83, v61, v60, s0
	s_waitcnt vmcnt(10)
	v_perm_b32 v84, v85, v60, s1
	s_waitcnt vmcnt(4)
	v_lshrrev_b32_e32 v94, 16, v35
	v_perm_b32 v81, v35, v62, s0
	s_waitcnt vmcnt(3)
	v_perm_b32 v82, v89, v62, s1
.LBB0_12:
	s_or_b64 exec, exec, s[4:5]
	s_mov_b32 s0, 0xaaaaaaab
	v_mul_hi_u32 v0, v1, s0
	s_mov_b32 s5, 0x5040100
	s_mov_b32 s1, 0x7060302
	v_perm_b32 v105, v19, v16, s5
	v_lshrrev_b32_e32 v0, 1, v0
	v_lshl_add_u32 v0, v0, 1, v0
	v_add_f16_e32 v24, v7, v6
	v_sub_u32_e32 v0, v1, v0
	v_perm_b32 v1, v6, v16, s1
	v_pk_add_f16 v16, v101, v105
	v_sub_f16_sdwa v25, v19, v92 dst_sel:DWORD dst_unused:UNUSED_PAD src0_sel:WORD_1 src1_sel:DWORD
	v_pk_add_f16 v26, v1, v102 neg_lo:[0,1] neg_hi:[0,1]
	v_add_f16_sdwa v29, v24, v16 dst_sel:DWORD dst_unused:UNUSED_PAD src0_sel:DWORD src1_sel:WORD_1
	v_sub_f16_e32 v30, v24, v16
	v_alignbit_b32 v24, v24, v16, 16
	v_pk_add_f16 v24, v16, v24 neg_lo:[0,1] neg_hi:[0,1]
	v_add_f16_e32 v31, v25, v26
	v_pack_b32_f16 v32, v25, v26
	s_mov_b32 s4, 0x39e02b26
	v_pk_add_f16 v32, v26, v32 neg_lo:[0,1] neg_hi:[0,1]
	v_sub_f16_sdwa v25, v25, v26 dst_sel:DWORD dst_unused:UNUSED_PAD src0_sel:DWORD src1_sel:WORD_1
	v_add_f16_sdwa v26, v26, v31 dst_sel:DWORD dst_unused:UNUSED_PAD src0_sel:WORD_1 src1_sel:DWORD
	v_mul_f16_e32 v31, 0xba52, v30
	v_pk_mul_f16 v33, v24, s4
	v_add_f16_e32 v16, v29, v16
	v_alignbit_b32 v31, v31, v33, 16
	s_mov_b32 s0, 0xb5743846
	v_add_f16_e32 v29, v16, v3
	s_movk_i32 s7, 0x3a52
	v_pk_fma_f16 v24, v24, s4, v31 neg_lo:[1,0,0] neg_hi:[1,0,0]
	v_pk_mul_f16 v31, v32, s0
	v_mul_f16_e32 v25, 0xbb00, v25
	s_mov_b32 s10, 0xbcab
	v_mul_u32_u24_e32 v0, 0x253, v0
	s_mov_b32 s6, 0xb70e
	v_fma_f16 v30, v30, s7, v33
	v_mul_f16_e32 v33, 0xb70e, v26
	v_fma_f16 v16, v16, s10, v29
	v_add_f16_sdwa v31, v31, v31 dst_sel:DWORD dst_unused:UNUSED_PAD src0_sel:WORD_1 src1_sel:DWORD
	v_pk_fma_f16 v25, v32, s0, v25 op_sel_hi:[1,1,0] neg_lo:[1,0,0] neg_hi:[1,0,1]
	v_lshlrev_b32_e32 v0, 1, v0
	v_add_f16_e32 v30, v30, v16
	v_pk_add_f16 v16, v24, v16 op_sel_hi:[1,0]
	v_fma_f16 v31, v26, s6, v31
	v_pk_add_f16 v24, v25, v33 op_sel_hi:[1,0]
	v_add_u32_e32 v79, 0, v0
	v_add_f16_e32 v32, v30, v31
	v_pk_add_f16 v25, v16, v24
	v_pk_add_f16 v16, v16, v24 neg_lo:[0,1] neg_hi:[0,1]
	s_mov_b32 s11, 0xffff
	v_perm_b32 v107, v50, v17, s5
	v_add_f16_e32 v27, v36, v23
	v_mad_u32_u24 v91, v8, 14, v79
	v_bfi_b32 v26, s11, v25, v16
	v_alignbit_b32 v25, v16, v25, 16
	v_pack_b32_f16 v24, v29, v32
	v_pk_add_f16 v16, v98, v107
	ds_write_b96 v91, v[24:26]
	v_perm_b32 v106, v23, v17, s1
	v_alignbit_b32 v25, v27, v16, 16
	v_sub_f16_sdwa v28, v50, v97 dst_sel:DWORD dst_unused:UNUSED_PAD src0_sel:WORD_1 src1_sel:DWORD
	v_pk_add_f16 v17, v106, v99 neg_lo:[0,1] neg_hi:[0,1]
	v_add_f16_sdwa v24, v27, v16 dst_sel:DWORD dst_unused:UNUSED_PAD src0_sel:DWORD src1_sel:WORD_1
	v_sub_f16_e32 v29, v27, v16
	v_pk_add_f16 v25, v16, v25 neg_lo:[0,1] neg_hi:[0,1]
	v_add_f16_e32 v26, v28, v17
	v_pack_b32_f16 v27, v28, v17
	v_sub_f16_sdwa v28, v28, v17 dst_sel:DWORD dst_unused:UNUSED_PAD src0_sel:DWORD src1_sel:WORD_1
	v_add_f16_e32 v16, v24, v16
	v_mul_f16_e32 v24, 0xba52, v29
	v_pk_mul_f16 v32, v25, s4
	v_pk_add_f16 v27, v17, v27 neg_lo:[0,1] neg_hi:[0,1]
	v_add_f16_sdwa v17, v17, v26 dst_sel:DWORD dst_unused:UNUSED_PAD src0_sel:WORD_1 src1_sel:DWORD
	v_alignbit_b32 v24, v24, v32, 16
	v_mul_f16_e32 v26, 0xbb00, v28
	v_add_f16_e32 v28, v16, v2
	v_pk_fma_f16 v24, v25, s4, v24 neg_lo:[1,0,0] neg_hi:[1,0,0]
	v_mul_f16_e32 v25, 0xb70e, v17
	v_pk_fma_f16 v26, v27, s0, v26 op_sel_hi:[1,1,0] neg_lo:[1,0,0] neg_hi:[1,0,1]
	v_fma_f16 v16, v16, s10, v28
	v_pk_add_f16 v25, v26, v25 op_sel_hi:[1,0]
	v_pk_add_f16 v24, v24, v16 op_sel_hi:[1,0]
	v_pk_add_f16 v33, v24, v25
	v_pk_add_f16 v24, v24, v25 neg_lo:[0,1] neg_hi:[0,1]
	v_bfi_b32 v26, s11, v33, v24
	v_alignbit_b32 v25, v24, v33, 16
	v_sub_f16_e32 v24, v30, v31
	ds_write_b16 v91, v24 offset:12
	v_fma_f16 v24, v29, s7, v32
	v_add_f16_e32 v16, v24, v16
	v_pk_mul_f16 v24, v27, s0
	v_add_f16_sdwa v24, v24, v24 dst_sel:DWORD dst_unused:UNUSED_PAD src0_sel:WORD_1 src1_sel:DWORD
	v_fma_f16 v27, v17, s6, v24
	v_add_f16_e32 v17, v16, v27
	v_perm_b32 v110, v77, v18, s5
	v_add_f16_e32 v30, v57, v41
	v_mad_i32_i24 v103, v12, 14, v79
	v_pack_b32_f16 v24, v28, v17
	v_perm_b32 v109, v41, v18, s1
	v_pk_add_f16 v17, v86, v110
	v_sub_f16_sdwa v29, v77, v93 dst_sel:DWORD dst_unused:UNUSED_PAD src0_sel:WORD_1 src1_sel:DWORD
	ds_write_b96 v103, v[24:26]
	v_pk_add_f16 v18, v109, v88 neg_lo:[0,1] neg_hi:[0,1]
	v_add_f16_sdwa v24, v30, v17 dst_sel:DWORD dst_unused:UNUSED_PAD src0_sel:DWORD src1_sel:WORD_1
	v_alignbit_b32 v26, v30, v17, 16
	v_sub_f16_e32 v25, v30, v17
	v_pk_add_f16 v26, v17, v26 neg_lo:[0,1] neg_hi:[0,1]
	v_add_f16_e32 v17, v24, v17
	v_pack_b32_f16 v24, v29, v18
	v_add_f16_e32 v28, v29, v18
	v_pk_add_f16 v24, v18, v24 neg_lo:[0,1] neg_hi:[0,1]
	v_sub_f16_sdwa v29, v29, v18 dst_sel:DWORD dst_unused:UNUSED_PAD src0_sel:DWORD src1_sel:WORD_1
	v_add_f16_sdwa v28, v18, v28 dst_sel:DWORD dst_unused:UNUSED_PAD src0_sel:WORD_1 src1_sel:DWORD
	v_mul_f16_e32 v18, 0xba52, v25
	v_pk_mul_f16 v30, v26, s4
	v_alignbit_b32 v18, v18, v30, 16
	v_pk_fma_f16 v18, v26, s4, v18 neg_lo:[1,0,0] neg_hi:[1,0,0]
	v_mul_f16_e32 v26, 0xbb00, v29
	v_pk_fma_f16 v26, v24, s0, v26 op_sel_hi:[1,1,0] neg_lo:[1,0,0] neg_hi:[1,0,1]
	v_mul_f16_e32 v29, 0xb70e, v28
	v_pk_add_f16 v26, v26, v29 op_sel_hi:[1,0]
	v_add_f16_e32 v29, v17, v20
	v_sub_f16_e32 v16, v16, v27
	v_fma_f16 v31, v17, s10, v29
	ds_write_b16 v103, v16 offset:12
	v_fma_f16 v16, v25, s7, v30
	v_add_f16_e32 v25, v16, v31
	v_pk_mul_f16 v16, v24, s0
	v_add_f16_sdwa v16, v16, v16 dst_sel:DWORD dst_unused:UNUSED_PAD src0_sel:WORD_1 src1_sel:DWORD
	v_pk_add_f16 v17, v18, v31 op_sel_hi:[1,0]
	v_fma_f16 v24, v28, s6, v16
	v_pk_add_f16 v32, v17, v26
	v_pk_add_f16 v17, v17, v26 neg_lo:[0,1] neg_hi:[0,1]
	v_add_f16_e32 v16, v25, v24
	v_bfi_b32 v18, s11, v32, v17
	v_alignbit_b32 v17, v17, v32, 16
	v_pack_b32_f16 v16, v29, v16
	v_mad_i32_i24 v104, v14, 14, v79
	s_waitcnt vmcnt(0)
	v_perm_b32 v111, v100, v22, s5
	v_add_f16_e32 v26, v85, v96
	ds_write_b96 v104, v[16:18]
	v_pk_add_f16 v16, v83, v111
	v_add_f16_sdwa v17, v26, v16 dst_sel:DWORD dst_unused:UNUSED_PAD src0_sel:DWORD src1_sel:WORD_1
	v_alignbit_b32 v18, v26, v16, 16
	v_perm_b32 v113, v96, v22, s1
	v_sub_f16_e32 v27, v26, v16
	v_pk_add_f16 v18, v16, v18 neg_lo:[0,1] neg_hi:[0,1]
	v_add_f16_e32 v16, v17, v16
	v_sub_f16_sdwa v17, v100, v95 dst_sel:DWORD dst_unused:UNUSED_PAD src0_sel:WORD_1 src1_sel:DWORD
	v_pk_add_f16 v22, v113, v84 neg_lo:[0,1] neg_hi:[0,1]
	v_pack_b32_f16 v26, v17, v22
	v_add_f16_e32 v28, v17, v22
	v_pk_add_f16 v26, v22, v26 neg_lo:[0,1] neg_hi:[0,1]
	v_sub_f16_sdwa v17, v17, v22 dst_sel:DWORD dst_unused:UNUSED_PAD src0_sel:DWORD src1_sel:WORD_1
	v_add_f16_sdwa v22, v22, v28 dst_sel:DWORD dst_unused:UNUSED_PAD src0_sel:WORD_1 src1_sel:DWORD
	v_mul_f16_e32 v28, 0xba52, v27
	v_pk_mul_f16 v29, v18, s4
	v_alignbit_b32 v28, v28, v29, 16
	v_mul_f16_e32 v17, 0xbb00, v17
	v_pk_fma_f16 v18, v18, s4, v28 neg_lo:[1,0,0] neg_hi:[1,0,0]
	v_pk_fma_f16 v17, v26, s0, v17 op_sel_hi:[1,1,0] neg_lo:[1,0,0] neg_hi:[1,0,1]
	v_mul_f16_e32 v28, 0xb70e, v22
	v_pk_add_f16 v17, v17, v28 op_sel_hi:[1,0]
	v_add_f16_e32 v28, v16, v80
	v_fma_f16 v16, v16, s10, v28
	v_fma_f16 v27, v27, s7, v29
	v_pk_add_f16 v18, v18, v16 op_sel_hi:[1,0]
	v_add_f16_e32 v27, v27, v16
	v_pk_mul_f16 v16, v26, s0
	v_add_f16_sdwa v16, v16, v16 dst_sel:DWORD dst_unused:UNUSED_PAD src0_sel:WORD_1 src1_sel:DWORD
	v_fma_f16 v22, v22, s6, v16
	v_pk_add_f16 v30, v18, v17
	v_pk_add_f16 v17, v18, v17 neg_lo:[0,1] neg_hi:[0,1]
	v_add_f16_e32 v16, v27, v22
	v_bfi_b32 v18, s11, v30, v17
	v_alignbit_b32 v17, v17, v30, 16
	v_pack_b32_f16 v16, v28, v16
	v_sub_f16_e32 v24, v25, v24
	v_mad_i32_i24 v108, v15, 14, v79
	v_perm_b32 v114, v90, v21, s5
	ds_write_b16 v104, v24 offset:12
	ds_write_b96 v108, v[16:18]
	v_add_f16_e32 v16, v89, v87
	v_pk_add_f16 v17, v81, v114
	v_add_f16_sdwa v18, v16, v17 dst_sel:DWORD dst_unused:UNUSED_PAD src0_sel:DWORD src1_sel:WORD_1
	v_sub_f16_e32 v24, v16, v17
	v_alignbit_b32 v16, v16, v17, 16
	v_perm_b32 v115, v87, v21, s1
	v_pk_add_f16 v16, v17, v16 neg_lo:[0,1] neg_hi:[0,1]
	v_add_f16_e32 v17, v18, v17
	v_sub_f16_sdwa v18, v90, v94 dst_sel:DWORD dst_unused:UNUSED_PAD src0_sel:WORD_1 src1_sel:DWORD
	v_pk_add_f16 v21, v115, v82 neg_lo:[0,1] neg_hi:[0,1]
	v_pack_b32_f16 v25, v18, v21
	v_add_f16_e32 v26, v18, v21
	v_pk_add_f16 v25, v21, v25 neg_lo:[0,1] neg_hi:[0,1]
	v_sub_f16_sdwa v18, v18, v21 dst_sel:DWORD dst_unused:UNUSED_PAD src0_sel:DWORD src1_sel:WORD_1
	v_add_f16_sdwa v21, v21, v26 dst_sel:DWORD dst_unused:UNUSED_PAD src0_sel:WORD_1 src1_sel:DWORD
	v_pk_mul_f16 v26, v16, s4
	v_mul_f16_e32 v28, 0xba52, v24
	v_alignbit_b32 v28, v28, v26, 16
	v_mul_f16_e32 v18, 0xbb00, v18
	v_pk_fma_f16 v16, v16, s4, v28 neg_lo:[1,0,0] neg_hi:[1,0,0]
	v_pk_fma_f16 v18, v25, s0, v18 op_sel_hi:[1,1,0] neg_lo:[1,0,0] neg_hi:[1,0,1]
	v_mul_f16_e32 v28, 0xb70e, v21
	v_pk_add_f16 v18, v18, v28 op_sel_hi:[1,0]
	v_add_f16_e32 v28, v17, v78
	v_fma_f16 v29, v17, s10, v28
	v_pk_add_f16 v16, v16, v29 op_sel_hi:[1,0]
	v_pk_add_f16 v17, v16, v18
	v_pk_add_f16 v16, v16, v18 neg_lo:[0,1] neg_hi:[0,1]
	v_bfi_b32 v18, s11, v17, v16
	v_alignbit_b32 v17, v16, v17, 16
	v_fma_f16 v16, v24, s7, v26
	v_add_f16_e32 v24, v16, v29
	v_pk_mul_f16 v16, v25, s0
	v_add_f16_sdwa v16, v16, v16 dst_sel:DWORD dst_unused:UNUSED_PAD src0_sel:WORD_1 src1_sel:DWORD
	v_fma_f16 v21, v21, s6, v16
	v_add_f16_e32 v16, v24, v21
	v_pack_b32_f16 v16, v28, v16
	v_sub_f16_e32 v22, v27, v22
	v_mad_i32_i24 v112, v13, 14, v79
	ds_write_b16 v108, v22 offset:12
	ds_write_b96 v112, v[16:18]
	v_lshlrev_b32_e32 v16, 1, v8
	v_sub_f16_e32 v22, v24, v21
	v_add_u32_e32 v17, v79, v16
	v_add3_u32 v16, 0, v16, v0
	ds_write_b16 v112, v22 offset:12
	s_waitcnt lgkmcnt(0)
	; wave barrier
	s_waitcnt lgkmcnt(0)
	ds_read_u16 v76, v17
	ds_read_u16 v66, v16 offset:70
	ds_read_u16 v58, v16 offset:104
	;; [unrolled: 1-line block ×3, first 2 shown]
	v_lshl_add_u32 v18, v12, 1, v79
	ds_read_u16 v63, v16 offset:280
	ds_read_u16 v54, v16 offset:244
	;; [unrolled: 1-line block ×28, first 2 shown]
	ds_read_u16 v71, v18
	ds_read_u16 v37, v16 offset:1154
	s_mov_b32 s11, 0xbb00
	v_cmp_eq_u32_e64 s[0:1], 0, v8
                                        ; implicit-def: $vgpr34
                                        ; implicit-def: $vgpr32
                                        ; implicit-def: $vgpr31
                                        ; implicit-def: $vgpr30
                                        ; implicit-def: $vgpr26
                                        ; implicit-def: $vgpr27
                                        ; implicit-def: $vgpr21
                                        ; implicit-def: $vgpr24
                                        ; implicit-def: $vgpr49
                                        ; implicit-def: $vgpr47
                                        ; implicit-def: $vgpr43
                                        ; implicit-def: $vgpr39
                                        ; implicit-def: $vgpr33
                                        ; implicit-def: $vgpr29
                                        ; implicit-def: $vgpr25
                                        ; implicit-def: $vgpr28
	s_and_saveexec_b64 s[4:5], s[0:1]
	s_cbranch_execz .LBB0_14
; %bb.13:
	ds_read_u16 v22, v79 offset:68
	ds_read_u16 v34, v79 offset:138
	;; [unrolled: 1-line block ×17, first 2 shown]
.LBB0_14:
	s_or_b64 exec, exec, s[4:5]
	v_sub_f16_e32 v6, v6, v7
	v_add_f16_sdwa v7, v92, v19 dst_sel:DWORD dst_unused:UNUSED_PAD src0_sel:DWORD src1_sel:WORD_1
	v_pk_add_f16 v1, v102, v1
	v_sub_f16_e32 v19, v23, v36
	v_sub_f16_e32 v36, v41, v57
	v_add_f16_sdwa v41, v93, v77 dst_sel:DWORD dst_unused:UNUSED_PAD src0_sel:DWORD src1_sel:WORD_1
	v_sub_f16_e32 v77, v87, v89
	v_pk_add_f16 v87, v105, v101 neg_lo:[0,1] neg_hi:[0,1]
	v_add_f16_sdwa v89, v1, v7 dst_sel:DWORD dst_unused:UNUSED_PAD src0_sel:WORD_1 src1_sel:DWORD
	v_add_f16_sdwa v23, v97, v50 dst_sel:DWORD dst_unused:UNUSED_PAD src0_sel:DWORD src1_sel:WORD_1
	v_sub_f16_e32 v50, v96, v85
	v_add_f16_sdwa v57, v95, v100 dst_sel:DWORD dst_unused:UNUSED_PAD src0_sel:DWORD src1_sel:WORD_1
	v_add_f16_sdwa v85, v94, v90 dst_sel:DWORD dst_unused:UNUSED_PAD src0_sel:DWORD src1_sel:WORD_1
	v_sub_f16_sdwa v90, v7, v1 dst_sel:DWORD dst_unused:UNUSED_PAD src0_sel:DWORD src1_sel:WORD_1
	v_sub_f16_sdwa v92, v1, v1 dst_sel:DWORD dst_unused:UNUSED_PAD src0_sel:WORD_1 src1_sel:DWORD
	v_sub_f16_e32 v7, v1, v7
	v_add_f16_sdwa v93, v87, v87 dst_sel:DWORD dst_unused:UNUSED_PAD src0_sel:WORD_1 src1_sel:DWORD
	v_sub_f16_sdwa v94, v87, v87 dst_sel:DWORD dst_unused:UNUSED_PAD src0_sel:DWORD src1_sel:WORD_1
	v_sub_f16_e32 v95, v6, v87
	v_sub_f16_sdwa v87, v87, v6 dst_sel:DWORD dst_unused:UNUSED_PAD src0_sel:WORD_1 src1_sel:DWORD
	v_add_f16_e32 v1, v89, v1
	v_add_f16_e32 v6, v6, v93
	v_add_f16_sdwa v3, v1, v3 dst_sel:DWORD dst_unused:UNUSED_PAD src0_sel:DWORD src1_sel:WORD_1
	v_mul_f16_e32 v89, 0x3a52, v92
	v_mul_f16_e32 v7, 0x2b26, v7
	;; [unrolled: 1-line block ×4, first 2 shown]
	s_movk_i32 s4, 0x39e0
	s_mov_b32 s5, 0xb9e0
	s_mov_b32 s14, 0xb574
	s_movk_i32 s15, 0x3574
	v_fma_f16 v1, v1, s10, v3
	v_fma_f16 v92, v92, s7, v7
	v_fma_f16 v7, v90, s4, -v7
	v_fma_f16 v89, v90, s5, -v89
	v_fma_f16 v90, v95, s14, v93
	v_fma_f16 v87, v87, s11, -v93
	v_fma_f16 v93, v95, s15, -v94
	v_add_f16_e32 v92, v92, v1
	v_add_f16_e32 v7, v7, v1
	;; [unrolled: 1-line block ×3, first 2 shown]
	v_fma_f16 v89, v6, s6, v90
	v_fma_f16 v87, v6, s6, v87
	;; [unrolled: 1-line block ×3, first 2 shown]
	v_sub_f16_e32 v93, v1, v6
	v_add_f16_e32 v6, v6, v1
	v_pk_add_f16 v1, v99, v106
	v_sub_f16_e32 v90, v92, v89
	v_add_f16_e32 v94, v87, v7
	v_sub_f16_e32 v7, v7, v87
	v_add_f16_e32 v87, v89, v92
	v_pk_add_f16 v89, v107, v98 neg_lo:[0,1] neg_hi:[0,1]
	v_add_f16_sdwa v92, v1, v23 dst_sel:DWORD dst_unused:UNUSED_PAD src0_sel:WORD_1 src1_sel:DWORD
	v_sub_f16_sdwa v95, v23, v1 dst_sel:DWORD dst_unused:UNUSED_PAD src0_sel:DWORD src1_sel:WORD_1
	v_sub_f16_sdwa v96, v1, v1 dst_sel:DWORD dst_unused:UNUSED_PAD src0_sel:WORD_1 src1_sel:DWORD
	v_sub_f16_e32 v23, v1, v23
	v_add_f16_sdwa v97, v89, v89 dst_sel:DWORD dst_unused:UNUSED_PAD src0_sel:WORD_1 src1_sel:DWORD
	v_sub_f16_sdwa v98, v89, v89 dst_sel:DWORD dst_unused:UNUSED_PAD src0_sel:DWORD src1_sel:WORD_1
	v_sub_f16_e32 v99, v19, v89
	v_sub_f16_sdwa v89, v89, v19 dst_sel:DWORD dst_unused:UNUSED_PAD src0_sel:WORD_1 src1_sel:DWORD
	v_add_f16_e32 v1, v92, v1
	v_add_f16_e32 v19, v19, v97
	v_add_f16_sdwa v2, v1, v2 dst_sel:DWORD dst_unused:UNUSED_PAD src0_sel:DWORD src1_sel:WORD_1
	v_mul_f16_e32 v92, 0x3a52, v96
	v_mul_f16_e32 v23, 0x2b26, v23
	;; [unrolled: 1-line block ×4, first 2 shown]
	v_fma_f16 v1, v1, s10, v2
	v_fma_f16 v96, v96, s7, v23
	v_fma_f16 v23, v95, s4, -v23
	v_fma_f16 v92, v95, s5, -v92
	v_fma_f16 v95, v99, s14, v97
	v_fma_f16 v89, v89, s11, -v97
	v_fma_f16 v97, v99, s15, -v98
	v_add_f16_e32 v96, v96, v1
	v_add_f16_e32 v23, v23, v1
	;; [unrolled: 1-line block ×3, first 2 shown]
	v_fma_f16 v92, v19, s6, v95
	v_fma_f16 v89, v19, s6, v89
	;; [unrolled: 1-line block ×3, first 2 shown]
	v_sub_f16_e32 v97, v1, v19
	v_add_f16_e32 v19, v19, v1
	v_pk_add_f16 v1, v88, v109
	v_pk_add_f16 v86, v110, v86 neg_lo:[0,1] neg_hi:[0,1]
	v_add_f16_sdwa v88, v1, v41 dst_sel:DWORD dst_unused:UNUSED_PAD src0_sel:WORD_1 src1_sel:DWORD
	v_sub_f16_e32 v95, v96, v92
	v_add_f16_e32 v98, v89, v23
	v_sub_f16_e32 v23, v23, v89
	v_add_f16_e32 v89, v92, v96
	v_sub_f16_sdwa v92, v41, v1 dst_sel:DWORD dst_unused:UNUSED_PAD src0_sel:DWORD src1_sel:WORD_1
	v_sub_f16_sdwa v96, v1, v1 dst_sel:DWORD dst_unused:UNUSED_PAD src0_sel:WORD_1 src1_sel:DWORD
	v_sub_f16_e32 v41, v1, v41
	v_add_f16_sdwa v99, v86, v86 dst_sel:DWORD dst_unused:UNUSED_PAD src0_sel:WORD_1 src1_sel:DWORD
	v_sub_f16_sdwa v100, v86, v86 dst_sel:DWORD dst_unused:UNUSED_PAD src0_sel:DWORD src1_sel:WORD_1
	v_sub_f16_e32 v101, v36, v86
	v_sub_f16_sdwa v86, v86, v36 dst_sel:DWORD dst_unused:UNUSED_PAD src0_sel:WORD_1 src1_sel:DWORD
	v_add_f16_e32 v1, v88, v1
	v_add_f16_e32 v36, v36, v99
	v_add_f16_sdwa v20, v1, v20 dst_sel:DWORD dst_unused:UNUSED_PAD src0_sel:DWORD src1_sel:WORD_1
	v_mul_f16_e32 v88, 0x3a52, v96
	v_mul_f16_e32 v41, 0x2b26, v41
	;; [unrolled: 1-line block ×4, first 2 shown]
	v_fma_f16 v1, v1, s10, v20
	v_fma_f16 v96, v96, s7, v41
	v_fma_f16 v41, v92, s4, -v41
	v_fma_f16 v88, v92, s5, -v88
	v_fma_f16 v92, v101, s14, v99
	v_fma_f16 v86, v86, s11, -v99
	v_fma_f16 v99, v101, s15, -v100
	v_add_f16_e32 v96, v96, v1
	v_add_f16_e32 v41, v41, v1
	;; [unrolled: 1-line block ×3, first 2 shown]
	v_fma_f16 v88, v36, s6, v92
	v_fma_f16 v86, v36, s6, v86
	;; [unrolled: 1-line block ×3, first 2 shown]
	v_sub_f16_e32 v99, v1, v36
	v_add_f16_e32 v36, v36, v1
	v_pk_add_f16 v1, v84, v113
	v_pk_add_f16 v83, v111, v83 neg_lo:[0,1] neg_hi:[0,1]
	v_add_f16_sdwa v84, v1, v57 dst_sel:DWORD dst_unused:UNUSED_PAD src0_sel:WORD_1 src1_sel:DWORD
	v_sub_f16_e32 v92, v96, v88
	v_add_f16_e32 v100, v86, v41
	v_sub_f16_e32 v41, v41, v86
	v_add_f16_e32 v86, v88, v96
	v_sub_f16_sdwa v88, v57, v1 dst_sel:DWORD dst_unused:UNUSED_PAD src0_sel:DWORD src1_sel:WORD_1
	v_sub_f16_sdwa v96, v1, v1 dst_sel:DWORD dst_unused:UNUSED_PAD src0_sel:WORD_1 src1_sel:DWORD
	v_sub_f16_e32 v57, v1, v57
	v_add_f16_sdwa v101, v83, v83 dst_sel:DWORD dst_unused:UNUSED_PAD src0_sel:WORD_1 src1_sel:DWORD
	v_sub_f16_sdwa v102, v83, v83 dst_sel:DWORD dst_unused:UNUSED_PAD src0_sel:DWORD src1_sel:WORD_1
	v_sub_f16_e32 v105, v50, v83
	v_sub_f16_sdwa v83, v83, v50 dst_sel:DWORD dst_unused:UNUSED_PAD src0_sel:WORD_1 src1_sel:DWORD
	v_add_f16_e32 v1, v84, v1
	v_add_f16_e32 v50, v50, v101
	v_add_f16_sdwa v84, v1, v80 dst_sel:DWORD dst_unused:UNUSED_PAD src0_sel:DWORD src1_sel:WORD_1
	v_mul_f16_e32 v80, 0x3a52, v96
	v_mul_f16_e32 v57, 0x2b26, v57
	;; [unrolled: 1-line block ×4, first 2 shown]
	v_fma_f16 v1, v1, s10, v84
	v_fma_f16 v96, v96, s7, v57
	v_fma_f16 v57, v88, s4, -v57
	v_fma_f16 v80, v88, s5, -v80
	v_fma_f16 v88, v105, s14, v101
	v_fma_f16 v83, v83, s11, -v101
	v_fma_f16 v101, v105, s15, -v102
	v_add_f16_e32 v96, v96, v1
	v_add_f16_e32 v57, v57, v1
	;; [unrolled: 1-line block ×3, first 2 shown]
	v_fma_f16 v80, v50, s6, v88
	v_fma_f16 v83, v50, s6, v83
	;; [unrolled: 1-line block ×3, first 2 shown]
	v_sub_f16_e32 v101, v1, v50
	v_add_f16_e32 v50, v50, v1
	v_pk_add_f16 v1, v82, v115
	v_sub_f16_e32 v88, v96, v80
	v_add_f16_e32 v102, v83, v57
	v_sub_f16_e32 v57, v57, v83
	v_add_f16_e32 v83, v80, v96
	v_pk_add_f16 v80, v114, v81 neg_lo:[0,1] neg_hi:[0,1]
	v_add_f16_sdwa v81, v1, v85 dst_sel:DWORD dst_unused:UNUSED_PAD src0_sel:WORD_1 src1_sel:DWORD
	v_sub_f16_sdwa v82, v85, v1 dst_sel:DWORD dst_unused:UNUSED_PAD src0_sel:DWORD src1_sel:WORD_1
	v_sub_f16_sdwa v96, v1, v1 dst_sel:DWORD dst_unused:UNUSED_PAD src0_sel:WORD_1 src1_sel:DWORD
	v_sub_f16_e32 v85, v1, v85
	v_add_f16_sdwa v105, v80, v80 dst_sel:DWORD dst_unused:UNUSED_PAD src0_sel:WORD_1 src1_sel:DWORD
	v_sub_f16_sdwa v106, v80, v80 dst_sel:DWORD dst_unused:UNUSED_PAD src0_sel:DWORD src1_sel:WORD_1
	v_sub_f16_e32 v107, v77, v80
	v_sub_f16_sdwa v80, v80, v77 dst_sel:DWORD dst_unused:UNUSED_PAD src0_sel:WORD_1 src1_sel:DWORD
	v_add_f16_e32 v1, v81, v1
	v_add_f16_e32 v77, v77, v105
	v_add_f16_sdwa v78, v1, v78 dst_sel:DWORD dst_unused:UNUSED_PAD src0_sel:DWORD src1_sel:WORD_1
	v_mul_f16_e32 v81, 0x3a52, v96
	v_mul_f16_e32 v85, 0x2b26, v85
	;; [unrolled: 1-line block ×4, first 2 shown]
	v_fma_f16 v1, v1, s10, v78
	v_fma_f16 v96, v96, s7, v85
	v_fma_f16 v85, v82, s4, -v85
	v_fma_f16 v81, v82, s5, -v81
	v_fma_f16 v82, v107, s14, v105
	v_fma_f16 v80, v80, s11, -v105
	v_fma_f16 v105, v107, s15, -v106
	v_add_f16_e32 v96, v96, v1
	v_add_f16_e32 v85, v85, v1
	v_add_f16_e32 v1, v81, v1
	v_fma_f16 v81, v77, s6, v82
	v_fma_f16 v80, v77, s6, v80
	;; [unrolled: 1-line block ×3, first 2 shown]
	v_sub_f16_e32 v105, v96, v81
	v_sub_f16_e32 v106, v1, v77
	v_add_f16_e32 v107, v80, v85
	v_sub_f16_e32 v85, v85, v80
	v_add_f16_e32 v77, v77, v1
	v_add_f16_e32 v1, v81, v96
	v_pack_b32_f16 v82, v7, v6
	v_pack_b32_f16 v81, v93, v94
	;; [unrolled: 1-line block ×3, first 2 shown]
	s_waitcnt lgkmcnt(0)
	; wave barrier
	s_waitcnt lgkmcnt(0)
	ds_write_b96 v91, v[80:82]
	ds_write_b16 v91, v87 offset:12
	v_pack_b32_f16 v82, v23, v19
	v_pack_b32_f16 v81, v97, v98
	v_pack_b32_f16 v80, v2, v95
	ds_write_b96 v103, v[80:82]
	ds_write_b16 v103, v89 offset:12
	v_pack_b32_f16 v82, v41, v36
	v_pack_b32_f16 v81, v99, v100
	v_pack_b32_f16 v80, v20, v92
	;; [unrolled: 5-line block ×4, first 2 shown]
	ds_write_b96 v112, v[80:82]
	ds_write_b16 v112, v1 offset:12
	s_waitcnt lgkmcnt(0)
	; wave barrier
	s_waitcnt lgkmcnt(0)
	ds_read_u16 v50, v17
	ds_read_u16 v81, v16 offset:70
	ds_read_u16 v135, v16 offset:104
	;; [unrolled: 1-line block ×31, first 2 shown]
	ds_read_u16 v23, v18
	ds_read_u16 v93, v16 offset:1154
                                        ; implicit-def: $vgpr41
                                        ; implicit-def: $vgpr36
                                        ; implicit-def: $vgpr129
                                        ; implicit-def: $vgpr128
                                        ; implicit-def: $vgpr20
                                        ; implicit-def: $vgpr7
                                        ; implicit-def: $vgpr3
                                        ; implicit-def: $vgpr6
                                        ; implicit-def: $vgpr121
                                        ; implicit-def: $vgpr122
                                        ; implicit-def: $vgpr123
                                        ; implicit-def: $vgpr124
                                        ; implicit-def: $vgpr125
                                        ; implicit-def: $vgpr126
                                        ; implicit-def: $vgpr127
                                        ; implicit-def: $vgpr19
	s_and_saveexec_b64 s[4:5], s[0:1]
	s_cbranch_execz .LBB0_16
; %bb.15:
	ds_read_u16 v1, v79 offset:68
	ds_read_u16 v41, v79 offset:138
	;; [unrolled: 1-line block ×17, first 2 shown]
.LBB0_16:
	s_or_b64 exec, exec, s[4:5]
	v_mov_b32_e32 v2, 37
	v_mul_lo_u16_sdwa v79, v8, v2 dst_sel:DWORD dst_unused:UNUSED_PAD src0_sel:BYTE_0 src1_sel:DWORD
	v_sub_u16_sdwa v92, v8, v79 dst_sel:DWORD dst_unused:UNUSED_PAD src0_sel:DWORD src1_sel:BYTE_1
	v_lshrrev_b16_e32 v92, 1, v92
	v_and_b32_e32 v92, 0x7f, v92
	v_add_u16_sdwa v79, v92, v79 dst_sel:DWORD dst_unused:UNUSED_PAD src0_sel:DWORD src1_sel:BYTE_1
	v_lshrrev_b16_e32 v118, 2, v79
	v_mul_lo_u16_e32 v79, 7, v118
	v_sub_u16_e32 v119, v8, v79
	v_mov_b32_e32 v79, 6
	v_lshlrev_b32_sdwa v92, v79, v119 dst_sel:DWORD dst_unused:UNUSED_PAD src0_sel:DWORD src1_sel:BYTE_0
	global_load_dwordx4 v[139:142], v92, s[8:9]
	global_load_dwordx4 v[143:146], v92, s[8:9] offset:16
	global_load_dwordx4 v[147:150], v92, s[8:9] offset:32
	;; [unrolled: 1-line block ×3, first 2 shown]
	v_mul_lo_u16_sdwa v92, v12, v2 dst_sel:DWORD dst_unused:UNUSED_PAD src0_sel:BYTE_0 src1_sel:DWORD
	v_sub_u16_sdwa v94, v12, v92 dst_sel:DWORD dst_unused:UNUSED_PAD src0_sel:DWORD src1_sel:BYTE_1
	v_lshrrev_b16_e32 v94, 1, v94
	v_and_b32_e32 v94, 0x7f, v94
	v_add_u16_sdwa v92, v94, v92 dst_sel:DWORD dst_unused:UNUSED_PAD src0_sel:DWORD src1_sel:BYTE_1
	v_lshrrev_b16_e32 v117, 2, v92
	v_mul_lo_u16_e32 v92, 7, v117
	v_sub_u16_e32 v120, v12, v92
	v_lshlrev_b32_sdwa v92, v79, v120 dst_sel:DWORD dst_unused:UNUSED_PAD src0_sel:DWORD src1_sel:BYTE_0
	global_load_dwordx4 v[155:158], v92, s[8:9]
	global_load_dwordx4 v[159:162], v92, s[8:9] offset:16
	global_load_dwordx4 v[163:166], v92, s[8:9] offset:32
	;; [unrolled: 1-line block ×3, first 2 shown]
	v_mul_lo_u16_sdwa v2, v14, v2 dst_sel:DWORD dst_unused:UNUSED_PAD src0_sel:BYTE_0 src1_sel:DWORD
	v_sub_u16_sdwa v94, v14, v2 dst_sel:DWORD dst_unused:UNUSED_PAD src0_sel:DWORD src1_sel:BYTE_1
	v_lshrrev_b16_e32 v94, 1, v94
	v_and_b32_e32 v94, 0x7f, v94
	v_add_u16_sdwa v2, v94, v2 dst_sel:DWORD dst_unused:UNUSED_PAD src0_sel:DWORD src1_sel:BYTE_1
	v_lshrrev_b16_e32 v2, 2, v2
	v_mul_lo_u16_e32 v2, 7, v2
	v_sub_u16_e32 v2, v14, v2
	v_lshlrev_b32_sdwa v171, v79, v2 dst_sel:DWORD dst_unused:UNUSED_PAD src0_sel:DWORD src1_sel:BYTE_0
	s_movk_i32 s6, 0x3b76
	s_movk_i32 s7, 0x39e9
	;; [unrolled: 1-line block ×4, first 2 shown]
	s_mov_b32 s14, 0xb461
	s_mov_b32 s15, 0xb8d2
	;; [unrolled: 1-line block ×4, first 2 shown]
	s_movk_i32 s4, 0xee
	v_mad_u32_u24 v118, v118, s4, 0
	s_mov_b32 s28, 0xb5c8
	s_mov_b32 s25, 0xb964
	;; [unrolled: 1-line block ×8, first 2 shown]
	s_movk_i32 s30, 0x3836
	s_movk_i32 s22, 0x3bb2
	;; [unrolled: 1-line block ×8, first 2 shown]
	s_waitcnt vmcnt(7) lgkmcnt(14)
	v_mul_f16_sdwa v79, v81, v139 dst_sel:DWORD dst_unused:UNUSED_PAD src0_sel:DWORD src1_sel:WORD_1
	v_mul_f16_sdwa v92, v66, v139 dst_sel:DWORD dst_unused:UNUSED_PAD src0_sel:DWORD src1_sel:WORD_1
	;; [unrolled: 1-line block ×8, first 2 shown]
	v_fma_f16 v113, v66, v139, v79
	v_fma_f16 v114, v81, v139, -v92
	v_fma_f16 v109, v67, v140, v94
	v_fma_f16 v110, v82, v140, -v97
	;; [unrolled: 2-line block ×4, first 2 shown]
	global_load_dwordx4 v[139:142], v171, s[8:9]
	s_waitcnt vmcnt(7)
	v_mul_f16_sdwa v174, v83, v146 dst_sel:DWORD dst_unused:UNUSED_PAD src0_sel:DWORD src1_sel:WORD_1
	v_mul_f16_sdwa v111, v88, v144 dst_sel:DWORD dst_unused:UNUSED_PAD src0_sel:DWORD src1_sel:WORD_1
	;; [unrolled: 1-line block ×4, first 2 shown]
	v_fma_f16 v81, v60, v146, v174
	s_waitcnt vmcnt(5) lgkmcnt(7)
	v_mul_f16_sdwa v60, v112, v153 dst_sel:DWORD dst_unused:UNUSED_PAD src0_sel:DWORD src1_sel:WORD_1
	v_mul_f16_sdwa v63, v116, v154 dst_sel:DWORD dst_unused:UNUSED_PAD src0_sel:DWORD src1_sel:WORD_1
	;; [unrolled: 1-line block ×6, first 2 shown]
	v_fma_f16 v92, v70, v144, v111
	v_fma_f16 v94, v88, v144, -v115
	v_fma_f16 v111, v62, v153, v60
	v_mul_f16_sdwa v60, v59, v154 dst_sel:DWORD dst_unused:UNUSED_PAD src0_sel:DWORD src1_sel:WORD_1
	v_fma_f16 v115, v59, v154, v63
	s_waitcnt vmcnt(4)
	v_mul_f16_sdwa v59, v135, v155 dst_sel:DWORD dst_unused:UNUSED_PAD src0_sel:DWORD src1_sel:WORD_1
	v_fma_f16 v97, v74, v143, v103
	v_fma_f16 v98, v89, v143, -v107
	v_fma_f16 v87, v64, v145, v172
	v_fma_f16 v88, v84, v145, -v173
	v_fma_f16 v82, v83, v146, -v175
	global_load_dwordx4 v[143:146], v171, s[8:9] offset:16
	v_fma_f16 v77, v58, v155, v59
	v_mul_f16_sdwa v58, v58, v155 dst_sel:DWORD dst_unused:UNUSED_PAD src0_sel:DWORD src1_sel:WORD_1
	v_fma_f16 v79, v135, v155, -v58
	v_mul_f16_sdwa v58, v137, v156 dst_sel:DWORD dst_unused:UNUSED_PAD src0_sel:DWORD src1_sel:WORD_1
	v_mul_f16_sdwa v176, v95, v147 dst_sel:DWORD dst_unused:UNUSED_PAD src0_sel:DWORD src1_sel:WORD_1
	v_fma_f16 v74, v55, v156, v58
	v_mul_f16_sdwa v55, v55, v156 dst_sel:DWORD dst_unused:UNUSED_PAD src0_sel:DWORD src1_sel:WORD_1
	v_mul_f16_sdwa v177, v75, v147 dst_sel:DWORD dst_unused:UNUSED_PAD src0_sel:DWORD src1_sel:WORD_1
	v_fma_f16 v83, v75, v147, v176
	v_fma_f16 v75, v137, v156, -v55
	v_mul_f16_sdwa v55, v136, v157 dst_sel:DWORD dst_unused:UNUSED_PAD src0_sel:DWORD src1_sel:WORD_1
	v_fma_f16 v69, v54, v157, v55
	v_mul_f16_sdwa v54, v54, v157 dst_sel:DWORD dst_unused:UNUSED_PAD src0_sel:DWORD src1_sel:WORD_1
	v_mul_f16_sdwa v180, v96, v149 dst_sel:DWORD dst_unused:UNUSED_PAD src0_sel:DWORD src1_sel:WORD_1
	v_fma_f16 v70, v136, v157, -v54
	v_mul_f16_sdwa v54, v138, v158 dst_sel:DWORD dst_unused:UNUSED_PAD src0_sel:DWORD src1_sel:WORD_1
	v_mul_f16_sdwa v178, v90, v148 dst_sel:DWORD dst_unused:UNUSED_PAD src0_sel:DWORD src1_sel:WORD_1
	;; [unrolled: 1-line block ×6, first 2 shown]
	v_fma_f16 v84, v95, v147, -v177
	v_fma_f16 v95, v65, v149, v180
	v_fma_f16 v65, v56, v158, v54
	v_mul_f16_sdwa v54, v56, v158 dst_sel:DWORD dst_unused:UNUSED_PAD src0_sel:DWORD src1_sel:WORD_1
	v_fma_f16 v89, v72, v148, v178
	v_fma_f16 v90, v90, v148, -v179
	v_fma_f16 v96, v96, v149, -v181
	v_fma_f16 v99, v61, v150, v182
	v_fma_f16 v100, v100, v150, -v183
	v_fma_f16 v66, v138, v158, -v54
	global_load_dwordx4 v[135:138], v171, s[8:9] offset:32
	global_load_dwordx4 v[147:150], v171, s[8:9] offset:48
	v_mul_f16_sdwa v61, v62, v153 dst_sel:DWORD dst_unused:UNUSED_PAD src0_sel:DWORD src1_sel:WORD_1
	s_waitcnt vmcnt(6)
	v_mul_f16_sdwa v54, v133, v159 dst_sel:DWORD dst_unused:UNUSED_PAD src0_sel:DWORD src1_sel:WORD_1
	v_fma_f16 v112, v112, v153, -v61
	v_fma_f16 v61, v53, v159, v54
	v_mul_f16_sdwa v53, v53, v159 dst_sel:DWORD dst_unused:UNUSED_PAD src0_sel:DWORD src1_sel:WORD_1
	v_fma_f16 v64, v133, v159, -v53
	v_mul_f16_sdwa v53, v130, v160 dst_sel:DWORD dst_unused:UNUSED_PAD src0_sel:DWORD src1_sel:WORD_1
	v_fma_f16 v59, v51, v160, v53
	v_mul_f16_sdwa v51, v51, v160 dst_sel:DWORD dst_unused:UNUSED_PAD src0_sel:DWORD src1_sel:WORD_1
	v_fma_f16 v116, v116, v154, -v60
	v_fma_f16 v60, v130, v160, -v51
	v_mul_f16_sdwa v51, v57, v161 dst_sel:DWORD dst_unused:UNUSED_PAD src0_sel:DWORD src1_sel:WORD_1
	v_fma_f16 v55, v45, v161, v51
	v_mul_f16_sdwa v45, v45, v161 dst_sel:DWORD dst_unused:UNUSED_PAD src0_sel:DWORD src1_sel:WORD_1
	v_fma_f16 v56, v57, v161, -v45
	v_mul_f16_sdwa v45, v134, v162 dst_sel:DWORD dst_unused:UNUSED_PAD src0_sel:DWORD src1_sel:WORD_1
	v_fma_f16 v51, v52, v162, v45
	v_mul_f16_sdwa v45, v52, v162 dst_sel:DWORD dst_unused:UNUSED_PAD src0_sel:DWORD src1_sel:WORD_1
	v_fma_f16 v52, v134, v162, -v45
	s_waitcnt vmcnt(5)
	v_mul_f16_sdwa v45, v131, v163 dst_sel:DWORD dst_unused:UNUSED_PAD src0_sel:DWORD src1_sel:WORD_1
	v_fma_f16 v53, v48, v163, v45
	v_mul_f16_sdwa v45, v48, v163 dst_sel:DWORD dst_unused:UNUSED_PAD src0_sel:DWORD src1_sel:WORD_1
	v_fma_f16 v54, v131, v163, -v45
	v_mul_f16_sdwa v45, v85, v164 dst_sel:DWORD dst_unused:UNUSED_PAD src0_sel:DWORD src1_sel:WORD_1
	v_fma_f16 v57, v44, v164, v45
	v_mul_f16_sdwa v44, v44, v164 dst_sel:DWORD dst_unused:UNUSED_PAD src0_sel:DWORD src1_sel:WORD_1
	v_fma_f16 v58, v85, v164, -v44
	;; [unrolled: 4-line block ×3, first 2 shown]
	s_waitcnt lgkmcnt(2)
	v_mul_f16_sdwa v40, v132, v166 dst_sel:DWORD dst_unused:UNUSED_PAD src0_sel:DWORD src1_sel:WORD_1
	v_mul_f16_sdwa v186, v108, v152 dst_sel:DWORD dst_unused:UNUSED_PAD src0_sel:DWORD src1_sel:WORD_1
	v_fma_f16 v67, v46, v166, v40
	v_mul_f16_sdwa v40, v46, v166 dst_sel:DWORD dst_unused:UNUSED_PAD src0_sel:DWORD src1_sel:WORD_1
	v_mul_f16_sdwa v187, v68, v152 dst_sel:DWORD dst_unused:UNUSED_PAD src0_sel:DWORD src1_sel:WORD_1
	v_fma_f16 v107, v68, v152, v186
	v_fma_f16 v68, v132, v166, -v40
	s_waitcnt vmcnt(4)
	v_mul_f16_sdwa v40, v91, v167 dst_sel:DWORD dst_unused:UNUSED_PAD src0_sel:DWORD src1_sel:WORD_1
	v_mul_f16_sdwa v184, v104, v151 dst_sel:DWORD dst_unused:UNUSED_PAD src0_sel:DWORD src1_sel:WORD_1
	v_fma_f16 v72, v42, v167, v40
	v_mul_f16_sdwa v40, v42, v167 dst_sel:DWORD dst_unused:UNUSED_PAD src0_sel:DWORD src1_sel:WORD_1
	v_mul_f16_sdwa v185, v73, v151 dst_sel:DWORD dst_unused:UNUSED_PAD src0_sel:DWORD src1_sel:WORD_1
	v_fma_f16 v103, v73, v151, v184
	v_fma_f16 v73, v91, v167, -v40
	v_mul_f16_sdwa v40, v80, v168 dst_sel:DWORD dst_unused:UNUSED_PAD src0_sel:DWORD src1_sel:WORD_1
	v_fma_f16 v78, v38, v168, v40
	v_mul_f16_sdwa v38, v38, v168 dst_sel:DWORD dst_unused:UNUSED_PAD src0_sel:DWORD src1_sel:WORD_1
	v_fma_f16 v80, v80, v168, -v38
	v_mul_f16_sdwa v38, v86, v169 dst_sel:DWORD dst_unused:UNUSED_PAD src0_sel:DWORD src1_sel:WORD_1
	v_fma_f16 v85, v35, v169, v38
	v_mul_f16_sdwa v35, v35, v169 dst_sel:DWORD dst_unused:UNUSED_PAD src0_sel:DWORD src1_sel:WORD_1
	v_fma_f16 v86, v86, v169, -v35
	s_waitcnt lgkmcnt(0)
	v_mul_f16_sdwa v35, v93, v170 dst_sel:DWORD dst_unused:UNUSED_PAD src0_sel:DWORD src1_sel:WORD_1
	v_fma_f16 v91, v37, v170, v35
	v_mul_f16_sdwa v35, v37, v170 dst_sel:DWORD dst_unused:UNUSED_PAD src0_sel:DWORD src1_sel:WORD_1
	v_fma_f16 v93, v93, v170, -v35
	s_waitcnt vmcnt(3)
	v_mul_f16_sdwa v35, v41, v139 dst_sel:DWORD dst_unused:UNUSED_PAD src0_sel:DWORD src1_sel:WORD_1
	v_fma_f16 v44, v34, v139, v35
	v_mul_f16_sdwa v34, v34, v139 dst_sel:DWORD dst_unused:UNUSED_PAD src0_sel:DWORD src1_sel:WORD_1
	v_fma_f16 v46, v41, v139, -v34
	v_mul_f16_sdwa v34, v36, v140 dst_sel:DWORD dst_unused:UNUSED_PAD src0_sel:DWORD src1_sel:WORD_1
	v_fma_f16 v40, v32, v140, v34
	v_mul_f16_sdwa v32, v32, v140 dst_sel:DWORD dst_unused:UNUSED_PAD src0_sel:DWORD src1_sel:WORD_1
	v_fma_f16 v41, v36, v140, -v32
	;; [unrolled: 4-line block ×4, first 2 shown]
	s_waitcnt vmcnt(2)
	v_mul_f16_sdwa v30, v20, v143 dst_sel:DWORD dst_unused:UNUSED_PAD src0_sel:DWORD src1_sel:WORD_1
	v_fma_f16 v30, v26, v143, v30
	v_mul_f16_sdwa v26, v26, v143 dst_sel:DWORD dst_unused:UNUSED_PAD src0_sel:DWORD src1_sel:WORD_1
	v_fma_f16 v31, v20, v143, -v26
	v_mul_f16_sdwa v20, v7, v144 dst_sel:DWORD dst_unused:UNUSED_PAD src0_sel:DWORD src1_sel:WORD_1
	v_fma_f16 v26, v27, v144, v20
	v_mul_f16_sdwa v20, v27, v144 dst_sel:DWORD dst_unused:UNUSED_PAD src0_sel:DWORD src1_sel:WORD_1
	v_fma_f16 v27, v7, v144, -v20
	;; [unrolled: 4-line block ×3, first 2 shown]
	v_mul_f16_sdwa v3, v6, v146 dst_sel:DWORD dst_unused:UNUSED_PAD src0_sel:DWORD src1_sel:WORD_1
	v_fma_f16 v3, v24, v146, v3
	v_mul_f16_sdwa v7, v24, v146 dst_sel:DWORD dst_unused:UNUSED_PAD src0_sel:DWORD src1_sel:WORD_1
	s_waitcnt vmcnt(1)
	v_mul_f16_sdwa v24, v28, v135 dst_sel:DWORD dst_unused:UNUSED_PAD src0_sel:DWORD src1_sel:WORD_1
	s_waitcnt vmcnt(0)
	v_mul_f16_sdwa v45, v122, v149 dst_sel:DWORD dst_unused:UNUSED_PAD src0_sel:DWORD src1_sel:WORD_1
	v_fma_f16 v6, v6, v146, -v7
	v_mul_f16_sdwa v7, v19, v135 dst_sel:DWORD dst_unused:UNUSED_PAD src0_sel:DWORD src1_sel:WORD_1
	v_fma_f16 v19, v19, v135, -v24
	v_mul_f16_sdwa v24, v127, v136 dst_sel:DWORD dst_unused:UNUSED_PAD src0_sel:DWORD src1_sel:WORD_1
	v_mul_f16_sdwa v32, v125, v138 dst_sel:DWORD dst_unused:UNUSED_PAD src0_sel:DWORD src1_sel:WORD_1
	;; [unrolled: 1-line block ×3, first 2 shown]
	v_fma_f16 v45, v47, v149, v45
	v_mul_f16_sdwa v47, v47, v149 dst_sel:DWORD dst_unused:UNUSED_PAD src0_sel:DWORD src1_sel:WORD_1
	v_mul_f16_sdwa v48, v121, v150 dst_sel:DWORD dst_unused:UNUSED_PAD src0_sel:DWORD src1_sel:WORD_1
	v_fma_f16 v7, v28, v135, v7
	v_fma_f16 v24, v25, v136, v24
	v_mul_f16_sdwa v25, v25, v136 dst_sel:DWORD dst_unused:UNUSED_PAD src0_sel:DWORD src1_sel:WORD_1
	v_mul_f16_sdwa v28, v126, v137 dst_sel:DWORD dst_unused:UNUSED_PAD src0_sel:DWORD src1_sel:WORD_1
	v_fma_f16 v32, v33, v138, v32
	v_mul_f16_sdwa v33, v33, v138 dst_sel:DWORD dst_unused:UNUSED_PAD src0_sel:DWORD src1_sel:WORD_1
	v_mul_f16_sdwa v37, v124, v147 dst_sel:DWORD dst_unused:UNUSED_PAD src0_sel:DWORD src1_sel:WORD_1
	v_fma_f16 v42, v43, v148, v42
	v_mul_f16_sdwa v43, v43, v148 dst_sel:DWORD dst_unused:UNUSED_PAD src0_sel:DWORD src1_sel:WORD_1
	v_fma_f16 v47, v122, v149, -v47
	v_fma_f16 v48, v49, v150, v48
	v_mul_f16_sdwa v49, v49, v150 dst_sel:DWORD dst_unused:UNUSED_PAD src0_sel:DWORD src1_sel:WORD_1
	v_sub_f16_e32 v122, v114, v116
	v_fma_f16 v25, v127, v136, -v25
	v_fma_f16 v28, v29, v137, v28
	v_mul_f16_sdwa v29, v29, v137 dst_sel:DWORD dst_unused:UNUSED_PAD src0_sel:DWORD src1_sel:WORD_1
	v_fma_f16 v33, v125, v138, -v33
	v_fma_f16 v37, v39, v147, v37
	v_mul_f16_sdwa v39, v39, v147 dst_sel:DWORD dst_unused:UNUSED_PAD src0_sel:DWORD src1_sel:WORD_1
	v_fma_f16 v43, v123, v148, -v43
	v_fma_f16 v49, v121, v150, -v49
	v_add_f16_e32 v121, v113, v115
	v_mul_f16_e32 v123, 0xb5c8, v122
	v_mul_f16_e32 v125, 0xb964, v122
	;; [unrolled: 1-line block ×8, first 2 shown]
	v_sub_f16_e32 v138, v110, v112
	v_fma_f16 v29, v126, v137, -v29
	v_fma_f16 v39, v124, v147, -v39
	v_fma_f16 v124, v121, s6, v123
	v_fma_f16 v123, v121, s6, -v123
	v_fma_f16 v126, v121, s7, v125
	;; [unrolled: 2-line block ×8, first 2 shown]
	v_fma_f16 v121, v121, s17, -v122
	v_add_f16_e32 v122, v109, v111
	v_mul_f16_e32 v139, 0xb964, v138
	v_fma_f16 v140, v122, s7, v139
	v_add_f16_e32 v123, v76, v123
	v_fma_f16 v139, v122, s7, -v139
	v_add_f16_e32 v124, v76, v124
	v_add_f16_e32 v123, v139, v123
	v_mul_f16_e32 v139, 0xbbf7, v138
	v_add_f16_e32 v124, v140, v124
	v_fma_f16 v140, v122, s11, v139
	v_add_f16_e32 v125, v76, v125
	v_fma_f16 v139, v122, s11, -v139
	v_add_f16_e32 v126, v76, v126
	v_add_f16_e32 v125, v139, v125
	v_mul_f16_e32 v139, 0xba62, v138
	v_add_f16_e32 v126, v140, v126
	;; [unrolled: 7-line block ×5, first 2 shown]
	v_fma_f16 v140, v122, s14, v139
	v_add_f16_e32 v133, v76, v133
	v_fma_f16 v139, v122, s14, -v139
	v_add_f16_e32 v134, v76, v134
	v_add_f16_e32 v133, v139, v133
	v_mul_f16_e32 v139, 0x3b29, v138
	v_fma_f16 v108, v108, v152, -v187
	v_add_f16_e32 v134, v140, v134
	v_fma_f16 v140, v122, s10, v139
	v_add_f16_e32 v135, v76, v135
	v_fma_f16 v139, v122, s10, -v139
	v_mul_f16_e32 v138, 0x35c8, v138
	v_add_f16_e32 v135, v139, v135
	v_add_f16_e32 v137, v76, v137
	v_fma_f16 v139, v122, s6, v138
	v_fma_f16 v122, v122, s6, -v138
	v_add_f16_e32 v121, v76, v121
	v_sub_f16_e32 v138, v106, v108
	v_add_f16_e32 v136, v76, v136
	v_add_f16_e32 v137, v139, v137
	;; [unrolled: 1-line block ×4, first 2 shown]
	v_mul_f16_e32 v139, 0xbb29, v138
	v_add_f16_e32 v136, v140, v136
	v_fma_f16 v140, v122, s10, v139
	v_fma_f16 v139, v122, s10, -v139
	v_add_f16_e32 v123, v139, v123
	v_mul_f16_e32 v139, 0xba62, v138
	v_add_f16_e32 v124, v140, v124
	v_fma_f16 v140, v122, s15, v139
	v_fma_f16 v139, v122, s15, -v139
	v_add_f16_e32 v125, v139, v125
	;; [unrolled: 5-line block ×6, first 2 shown]
	v_mul_f16_e32 v139, 0xbbf7, v138
	v_fma_f16 v104, v104, v151, -v185
	v_add_f16_e32 v134, v140, v134
	v_fma_f16 v140, v122, s11, v139
	v_fma_f16 v139, v122, s11, -v139
	v_mul_f16_e32 v138, 0xb836, v138
	v_add_f16_e32 v135, v139, v135
	v_fma_f16 v139, v122, s16, v138
	v_fma_f16 v122, v122, s16, -v138
	v_sub_f16_e32 v138, v102, v104
	v_add_f16_e32 v137, v139, v137
	v_add_f16_e32 v121, v122, v121
	v_add_f16_e32 v122, v101, v103
	v_mul_f16_e32 v139, 0xbbf7, v138
	v_add_f16_e32 v136, v140, v136
	v_fma_f16 v140, v122, s11, v139
	v_fma_f16 v139, v122, s11, -v139
	v_add_f16_e32 v123, v139, v123
	v_mul_f16_e32 v139, 0xb1e1, v138
	v_add_f16_e32 v124, v140, v124
	v_fma_f16 v140, v122, s17, v139
	v_fma_f16 v139, v122, s17, -v139
	v_add_f16_e32 v125, v139, v125
	v_mul_f16_e32 v139, 0x3bb2, v138
	v_add_f16_e32 v126, v140, v126
	v_fma_f16 v140, v122, s14, v139
	v_fma_f16 v139, v122, s14, -v139
	v_add_f16_e32 v127, v139, v127
	v_mul_f16_e32 v139, 0x35c8, v138
	v_add_f16_e32 v128, v140, v128
	v_fma_f16 v140, v122, s6, v139
	v_fma_f16 v139, v122, s6, -v139
	v_add_f16_e32 v129, v139, v129
	v_mul_f16_e32 v139, 0xbb29, v138
	v_add_f16_e32 v130, v140, v130
	v_fma_f16 v140, v122, s10, v139
	v_fma_f16 v139, v122, s10, -v139
	v_add_f16_e32 v131, v139, v131
	v_mul_f16_e32 v139, 0xb836, v138
	v_add_f16_e32 v132, v140, v132
	v_fma_f16 v140, v122, s16, v139
	v_fma_f16 v139, v122, s16, -v139
	v_add_f16_e32 v133, v139, v133
	v_mul_f16_e32 v139, 0x3a62, v138
	v_add_f16_e32 v134, v140, v134
	v_fma_f16 v140, v122, s15, v139
	v_fma_f16 v139, v122, s15, -v139
	v_mul_f16_e32 v138, 0x3964, v138
	v_add_f16_e32 v135, v139, v135
	v_fma_f16 v139, v122, s7, v138
	v_fma_f16 v122, v122, s7, -v138
	v_sub_f16_e32 v138, v98, v100
	v_add_f16_e32 v137, v139, v137
	v_add_f16_e32 v121, v122, v121
	v_add_f16_e32 v122, v97, v99
	v_mul_f16_e32 v139, 0xbbb2, v138
	v_add_f16_e32 v136, v140, v136
	v_fma_f16 v140, v122, s14, v139
	v_fma_f16 v139, v122, s14, -v139
	v_add_f16_e32 v123, v139, v123
	v_mul_f16_e32 v139, 0x3836, v138
	v_add_f16_e32 v124, v140, v124
	v_fma_f16 v140, v122, s16, v139
	v_fma_f16 v139, v122, s16, -v139
	v_add_f16_e32 v125, v139, v125
	v_mul_f16_e32 v139, 0x3964, v138
	v_add_f16_e32 v126, v140, v126
	v_fma_f16 v140, v122, s7, v139
	v_fma_f16 v139, v122, s7, -v139
	v_add_f16_e32 v127, v139, v127
	v_mul_f16_e32 v139, 0xbb29, v138
	v_add_f16_e32 v128, v140, v128
	v_fma_f16 v140, v122, s10, v139
	v_fma_f16 v139, v122, s10, -v139
	v_add_f16_e32 v129, v139, v129
	v_mul_f16_e32 v139, 0xb1e1, v138
	v_add_f16_e32 v130, v140, v130
	v_fma_f16 v140, v122, s17, v139
	v_fma_f16 v139, v122, s17, -v139
	v_add_f16_e32 v131, v139, v131
	v_mul_f16_e32 v139, 0x3bf7, v138
	v_add_f16_e32 v132, v140, v132
	v_fma_f16 v140, v122, s11, v139
	v_fma_f16 v139, v122, s11, -v139
	v_add_f16_e32 v133, v139, v133
	v_mul_f16_e32 v139, 0xb5c8, v138
	;; [unrolled: 42-line block ×5, first 2 shown]
	v_add_f16_e32 v134, v140, v134
	v_fma_f16 v140, v122, s14, v139
	v_fma_f16 v139, v122, s14, -v139
	v_mul_f16_e32 v138, 0x3bf7, v138
	v_add_f16_e32 v135, v139, v135
	v_fma_f16 v139, v122, s11, v138
	v_fma_f16 v122, v122, s11, -v138
	v_sub_f16_e32 v138, v79, v93
	v_add_f16_e32 v137, v139, v137
	v_add_f16_e32 v122, v122, v121
	;; [unrolled: 1-line block ×3, first 2 shown]
	v_mul_f16_e32 v139, 0xb5c8, v138
	v_add_f16_e32 v136, v140, v136
	v_fma_f16 v140, v121, s6, v139
	v_mul_f16_e32 v141, 0xb964, v138
	v_mul_f16_e32 v143, 0xbb29, v138
	;; [unrolled: 1-line block ×7, first 2 shown]
	v_sub_f16_e32 v154, v75, v86
	v_fma_f16 v139, v121, s6, -v139
	v_fma_f16 v142, v121, s7, v141
	v_fma_f16 v141, v121, s7, -v141
	v_fma_f16 v144, v121, s10, v143
	;; [unrolled: 2-line block ×7, first 2 shown]
	v_fma_f16 v121, v121, s17, -v138
	v_add_f16_e32 v138, v71, v140
	v_add_f16_e32 v140, v74, v85
	v_mul_f16_e32 v155, 0xb964, v154
	v_fma_f16 v156, v140, s7, v155
	v_add_f16_e32 v139, v71, v139
	v_fma_f16 v155, v140, s7, -v155
	v_add_f16_e32 v139, v155, v139
	v_mul_f16_e32 v155, 0xbbf7, v154
	v_add_f16_e32 v138, v156, v138
	v_fma_f16 v156, v140, s11, v155
	v_add_f16_e32 v141, v71, v141
	v_fma_f16 v155, v140, s11, -v155
	v_add_f16_e32 v142, v71, v142
	v_add_f16_e32 v141, v155, v141
	v_mul_f16_e32 v155, 0xba62, v154
	v_add_f16_e32 v142, v156, v142
	v_fma_f16 v156, v140, s15, v155
	v_add_f16_e32 v143, v71, v143
	v_fma_f16 v155, v140, s15, -v155
	v_add_f16_e32 v144, v71, v144
	v_add_f16_e32 v143, v155, v143
	v_mul_f16_e32 v155, 0xb1e1, v154
	v_add_f16_e32 v144, v156, v144
	v_fma_f16 v156, v140, s17, v155
	v_add_f16_e32 v145, v71, v145
	v_fma_f16 v155, v140, s17, -v155
	v_add_f16_e32 v146, v71, v146
	v_add_f16_e32 v145, v155, v145
	v_mul_f16_e32 v155, 0x3836, v154
	v_add_f16_e32 v146, v156, v146
	v_fma_f16 v156, v140, s16, v155
	v_add_f16_e32 v147, v71, v147
	v_fma_f16 v155, v140, s16, -v155
	v_add_f16_e32 v148, v71, v148
	v_add_f16_e32 v147, v155, v147
	v_mul_f16_e32 v155, 0x3bb2, v154
	v_add_f16_e32 v148, v156, v148
	v_fma_f16 v156, v140, s14, v155
	v_add_f16_e32 v149, v71, v149
	v_fma_f16 v155, v140, s14, -v155
	v_add_f16_e32 v150, v71, v150
	v_add_f16_e32 v149, v155, v149
	v_mul_f16_e32 v155, 0x3b29, v154
	v_add_f16_e32 v150, v156, v150
	v_fma_f16 v156, v140, s10, v155
	v_add_f16_e32 v151, v71, v151
	v_fma_f16 v155, v140, s10, -v155
	v_mul_f16_e32 v154, 0x35c8, v154
	v_add_f16_e32 v151, v155, v151
	v_add_f16_e32 v153, v71, v153
	v_fma_f16 v155, v140, s6, v154
	v_fma_f16 v140, v140, s6, -v154
	v_add_f16_e32 v121, v71, v121
	v_sub_f16_e32 v154, v70, v80
	v_add_f16_e32 v152, v71, v152
	v_add_f16_e32 v153, v155, v153
	;; [unrolled: 1-line block ×4, first 2 shown]
	v_mul_f16_e32 v155, 0xbb29, v154
	v_add_f16_e32 v152, v156, v152
	v_fma_f16 v156, v140, s10, v155
	v_fma_f16 v155, v140, s10, -v155
	v_add_f16_e32 v139, v155, v139
	v_mul_f16_e32 v155, 0xba62, v154
	v_add_f16_e32 v138, v156, v138
	v_fma_f16 v156, v140, s15, v155
	v_fma_f16 v155, v140, s15, -v155
	v_add_f16_e32 v141, v155, v141
	v_mul_f16_e32 v155, 0x31e1, v154
	v_add_f16_e32 v142, v156, v142
	v_fma_f16 v156, v140, s17, v155
	v_fma_f16 v155, v140, s17, -v155
	v_add_f16_e32 v143, v155, v143
	v_mul_f16_e32 v155, 0x3bb2, v154
	v_add_f16_e32 v144, v156, v144
	v_fma_f16 v156, v140, s14, v155
	v_fma_f16 v155, v140, s14, -v155
	v_add_f16_e32 v145, v155, v145
	v_mul_f16_e32 v155, 0x3964, v154
	v_add_f16_e32 v146, v156, v146
	v_fma_f16 v156, v140, s7, v155
	v_fma_f16 v155, v140, s7, -v155
	v_add_f16_e32 v147, v155, v147
	v_mul_f16_e32 v155, 0xb5c8, v154
	v_add_f16_e32 v148, v156, v148
	v_fma_f16 v156, v140, s6, v155
	v_fma_f16 v155, v140, s6, -v155
	v_add_f16_e32 v149, v155, v149
	v_mul_f16_e32 v155, 0xbbf7, v154
	v_add_f16_e32 v150, v156, v150
	v_fma_f16 v156, v140, s11, v155
	v_fma_f16 v155, v140, s11, -v155
	v_mul_f16_e32 v154, 0xb836, v154
	v_add_f16_e32 v151, v155, v151
	v_fma_f16 v155, v140, s16, v154
	v_fma_f16 v140, v140, s16, -v154
	v_sub_f16_e32 v154, v66, v73
	v_add_f16_e32 v153, v155, v153
	v_add_f16_e32 v121, v140, v121
	v_add_f16_e32 v140, v65, v72
	v_mul_f16_e32 v155, 0xbbf7, v154
	v_add_f16_e32 v152, v156, v152
	v_fma_f16 v156, v140, s11, v155
	v_fma_f16 v155, v140, s11, -v155
	v_add_f16_e32 v139, v155, v139
	v_mul_f16_e32 v155, 0xb1e1, v154
	v_add_f16_e32 v138, v156, v138
	v_fma_f16 v156, v140, s17, v155
	v_fma_f16 v155, v140, s17, -v155
	v_add_f16_e32 v141, v155, v141
	v_mul_f16_e32 v155, 0x3bb2, v154
	v_add_f16_e32 v142, v156, v142
	v_fma_f16 v156, v140, s14, v155
	v_fma_f16 v155, v140, s14, -v155
	v_add_f16_e32 v143, v155, v143
	v_mul_f16_e32 v155, 0x35c8, v154
	v_add_f16_e32 v144, v156, v144
	v_fma_f16 v156, v140, s6, v155
	v_fma_f16 v155, v140, s6, -v155
	v_add_f16_e32 v145, v155, v145
	v_mul_f16_e32 v155, 0xbb29, v154
	v_add_f16_e32 v146, v156, v146
	v_fma_f16 v156, v140, s10, v155
	v_fma_f16 v155, v140, s10, -v155
	v_add_f16_e32 v147, v155, v147
	v_mul_f16_e32 v155, 0xb836, v154
	v_add_f16_e32 v148, v156, v148
	v_fma_f16 v156, v140, s16, v155
	v_fma_f16 v155, v140, s16, -v155
	v_add_f16_e32 v149, v155, v149
	v_mul_f16_e32 v155, 0x3a62, v154
	v_add_f16_e32 v150, v156, v150
	v_fma_f16 v156, v140, s15, v155
	v_fma_f16 v155, v140, s15, -v155
	v_mul_f16_e32 v154, 0x3964, v154
	v_add_f16_e32 v151, v155, v151
	v_fma_f16 v155, v140, s7, v154
	v_fma_f16 v140, v140, s7, -v154
	v_sub_f16_e32 v154, v64, v68
	v_add_f16_e32 v153, v155, v153
	v_add_f16_e32 v121, v140, v121
	v_add_f16_e32 v140, v61, v67
	;; [unrolled: 42-line block ×5, first 2 shown]
	v_mul_f16_e32 v155, 0xb1e1, v154
	v_add_f16_e32 v152, v156, v152
	v_fma_f16 v156, v140, s17, v155
	v_fma_f16 v155, v140, s17, -v155
	v_add_f16_e32 v139, v155, v139
	v_mul_f16_e32 v155, 0x35c8, v154
	v_add_f16_e32 v76, v76, v113
	v_add_f16_e32 v138, v156, v138
	v_fma_f16 v156, v140, s6, v155
	v_fma_f16 v155, v140, s6, -v155
	v_add_f16_e32 v76, v76, v109
	v_add_f16_e32 v71, v71, v77
	v_add_f16_e32 v141, v155, v141
	v_mul_f16_e32 v155, 0xb836, v154
	v_add_f16_e32 v76, v76, v105
	v_add_f16_e32 v71, v71, v74
	v_add_f16_e32 v142, v156, v142
	v_fma_f16 v156, v140, s16, v155
	v_fma_f16 v155, v140, s16, -v155
	v_add_f16_e32 v76, v76, v101
	v_add_f16_e32 v71, v71, v69
	v_add_f16_e32 v143, v155, v143
	v_mul_f16_e32 v155, 0x3964, v154
	v_add_f16_e32 v76, v76, v97
	;; [unrolled: 9-line block ×5, first 2 shown]
	v_add_f16_e32 v71, v71, v57
	v_add_f16_e32 v150, v156, v150
	v_fma_f16 v156, v140, s14, v155
	v_fma_f16 v155, v140, s14, -v155
	v_mul_f16_e32 v154, 0x3bf7, v154
	v_add_f16_e32 v76, v76, v99
	v_add_f16_e32 v71, v71, v62
	;; [unrolled: 1-line block ×3, first 2 shown]
	v_fma_f16 v155, v140, s11, v154
	v_fma_f16 v140, v140, s11, -v154
	v_add_f16_e32 v76, v76, v103
	v_add_f16_e32 v71, v71, v67
	;; [unrolled: 1-line block ×3, first 2 shown]
	v_mov_b32_e32 v121, 1
	v_add_f16_e32 v76, v76, v107
	v_add_f16_e32 v71, v71, v72
	v_lshlrev_b32_sdwa v119, v121, v119 dst_sel:DWORD dst_unused:UNUSED_PAD src0_sel:DWORD src1_sel:BYTE_0
	v_add_f16_e32 v76, v76, v111
	v_add_f16_e32 v71, v71, v78
	v_add3_u32 v118, v118, v119, v0
	v_add_f16_e32 v76, v76, v115
	v_add_f16_e32 v71, v71, v85
	s_waitcnt lgkmcnt(0)
	; wave barrier
	ds_write_b16 v118, v76
	ds_write_b16 v118, v124 offset:14
	ds_write_b16 v118, v126 offset:28
	;; [unrolled: 1-line block ×14, first 2 shown]
	v_add_f16_e32 v76, v71, v91
	v_mad_u32_u24 v71, v117, s4, 0
	v_lshlrev_b32_sdwa v117, v121, v120 dst_sel:DWORD dst_unused:UNUSED_PAD src0_sel:DWORD src1_sel:BYTE_0
	v_add3_u32 v71, v71, v117, v0
	v_add_f16_e32 v152, v156, v152
	v_add_f16_e32 v153, v155, v153
	ds_write_b16 v118, v125 offset:210
	ds_write_b16 v118, v123 offset:224
	ds_write_b16 v71, v76
	ds_write_b16 v71, v138 offset:14
	ds_write_b16 v71, v142 offset:28
	;; [unrolled: 1-line block ×16, first 2 shown]
	s_and_saveexec_b64 s[4:5], s[0:1]
	s_cbranch_execz .LBB0_18
; %bb.17:
	v_sub_f16_e32 v119, v46, v49
	v_add_f16_e32 v117, v44, v48
	v_mul_f16_e32 v120, 0xb1e1, v119
	v_sub_f16_e32 v124, v41, v47
	v_fma_f16 v122, v117, s17, -v120
	v_add_f16_e32 v123, v40, v45
	v_mul_f16_e32 v125, 0x35c8, v124
	v_add_f16_e32 v122, v22, v122
	v_fma_f16 v126, v123, s6, -v125
	v_sub_f16_e32 v127, v38, v43
	v_add_f16_e32 v122, v126, v122
	v_add_f16_e32 v126, v36, v42
	v_mul_f16_e32 v128, 0xb836, v127
	v_fma_f16 v129, v126, s16, -v128
	v_sub_f16_e32 v130, v35, v39
	v_add_f16_e32 v122, v129, v122
	v_add_f16_e32 v129, v34, v37
	v_mul_f16_e32 v131, 0x3964, v130
	;; [unrolled: 5-line block ×3, first 2 shown]
	v_fma_f16 v120, v117, s17, v120
	v_fma_f16 v135, v132, s15, -v134
	v_sub_f16_e32 v136, v27, v29
	v_add_f16_e32 v120, v22, v120
	v_fma_f16 v125, v123, s6, v125
	v_add_f16_e32 v122, v135, v122
	v_add_f16_e32 v135, v26, v28
	v_mul_f16_e32 v137, 0x3b29, v136
	v_add_f16_e32 v120, v125, v120
	v_fma_f16 v125, v126, s16, v128
	v_fma_f16 v138, v135, s10, -v137
	v_sub_f16_e32 v139, v21, v25
	v_add_f16_e32 v120, v125, v120
	v_fma_f16 v125, v129, s7, v131
	v_add_f16_e32 v122, v138, v122
	v_add_f16_e32 v138, v20, v24
	v_mul_f16_e32 v140, 0xbbb2, v139
	v_add_f16_e32 v120, v125, v120
	v_fma_f16 v125, v132, s15, v134
	v_fma_f16 v141, v138, s14, -v140
	v_sub_f16_e32 v142, v6, v19
	v_add_f16_e32 v120, v125, v120
	v_fma_f16 v125, v135, s10, v137
	v_add_f16_e32 v122, v141, v122
	v_add_f16_e32 v141, v3, v7
	v_mul_f16_e32 v143, 0x3bf7, v142
	v_add_f16_e32 v120, v125, v120
	v_fma_f16 v125, v138, s14, v140
	v_add_f16_e32 v120, v125, v120
	v_fma_f16 v125, v141, s11, v143
	v_add_f16_e32 v120, v125, v120
	v_mul_f16_e32 v125, 0xb836, v119
	v_fma_f16 v128, v117, s16, -v125
	v_mul_f16_e32 v131, 0x3b29, v124
	v_add_f16_e32 v128, v22, v128
	v_fma_f16 v134, v123, s10, -v131
	v_add_f16_e32 v128, v134, v128
	v_mul_f16_e32 v134, 0xbbf7, v127
	v_fma_f16 v137, v126, s11, -v134
	v_add_f16_e32 v128, v137, v128
	v_mul_f16_e32 v137, 0x3a62, v130
	v_fma_f16 v140, v129, s15, -v137
	v_add_f16_e32 v128, v140, v128
	v_mul_f16_e32 v140, 0xb5c8, v133
	v_fma_f16 v125, v117, s16, v125
	v_fma_f16 v144, v141, s11, -v143
	v_fma_f16 v143, v132, s6, -v140
	v_add_f16_e32 v125, v22, v125
	v_fma_f16 v131, v123, s10, v131
	v_add_f16_e32 v128, v143, v128
	v_mul_f16_e32 v143, 0xb1e1, v136
	v_add_f16_e32 v125, v131, v125
	v_fma_f16 v131, v126, s11, v134
	v_add_f16_e32 v122, v144, v122
	v_fma_f16 v144, v135, s17, -v143
	v_add_f16_e32 v125, v131, v125
	v_fma_f16 v131, v129, s15, v137
	v_add_f16_e32 v128, v144, v128
	v_mul_f16_e32 v144, 0x3964, v139
	v_add_f16_e32 v125, v131, v125
	v_fma_f16 v131, v132, s6, v140
	v_fma_f16 v145, v138, s7, -v144
	v_add_f16_e32 v125, v131, v125
	v_fma_f16 v131, v135, s17, v143
	v_add_f16_e32 v128, v145, v128
	v_mul_f16_e32 v145, 0xbbb2, v142
	v_add_f16_e32 v125, v131, v125
	v_fma_f16 v131, v138, s7, v144
	v_add_f16_e32 v125, v131, v125
	v_fma_f16 v131, v141, s14, v145
	v_add_f16_e32 v125, v131, v125
	v_mul_f16_e32 v131, 0xba62, v119
	v_fma_f16 v134, v117, s15, -v131
	v_mul_f16_e32 v137, 0x3bb2, v124
	v_add_f16_e32 v134, v22, v134
	v_fma_f16 v140, v123, s14, -v137
	v_add_f16_e32 v134, v140, v134
	v_mul_f16_e32 v140, 0xb5c8, v127
	v_fma_f16 v143, v126, s6, -v140
	v_add_f16_e32 v134, v143, v134
	v_mul_f16_e32 v143, 0xb836, v130
	v_fma_f16 v144, v129, s16, -v143
	v_add_f16_e32 v134, v144, v134
	v_mul_f16_e32 v144, 0x3bf7, v133
	v_fma_f16 v131, v117, s15, v131
	v_fma_f16 v146, v141, s14, -v145
	v_fma_f16 v145, v132, s11, -v144
	v_add_f16_e32 v131, v22, v131
	v_fma_f16 v137, v123, s14, v137
	v_add_f16_e32 v134, v145, v134
	v_mul_f16_e32 v145, 0xb964, v136
	v_add_f16_e32 v131, v137, v131
	v_fma_f16 v137, v126, s6, v140
	v_add_f16_e32 v128, v146, v128
	v_fma_f16 v146, v135, s7, -v145
	v_add_f16_e32 v131, v137, v131
	v_fma_f16 v137, v129, s16, v143
	v_add_f16_e32 v134, v146, v134
	v_mul_f16_e32 v146, 0xb1e1, v139
	v_add_f16_e32 v131, v137, v131
	v_fma_f16 v137, v132, s11, v144
	v_fma_f16 v147, v138, s17, -v146
	v_add_f16_e32 v131, v137, v131
	v_fma_f16 v137, v135, s7, v145
	v_add_f16_e32 v134, v147, v134
	v_mul_f16_e32 v147, 0x3b29, v142
	v_add_f16_e32 v131, v137, v131
	;; [unrolled: 40-line block ×5, first 2 shown]
	v_fma_f16 v147, v138, s11, v152
	v_add_f16_e32 v145, v147, v145
	v_fma_f16 v147, v141, s16, v153
	v_add_f16_e32 v145, v147, v145
	v_mul_f16_e32 v147, 0xb964, v119
	v_fma_f16 v148, v117, s7, -v147
	v_mul_f16_e32 v149, 0xbbf7, v124
	v_add_f16_e32 v148, v22, v148
	v_fma_f16 v150, v123, s11, -v149
	v_add_f16_e32 v148, v150, v148
	v_mul_f16_e32 v150, 0xba62, v127
	v_fma_f16 v151, v126, s15, -v150
	v_add_f16_e32 v148, v151, v148
	v_mul_f16_e32 v151, 0xb1e1, v130
	v_fma_f16 v152, v129, s17, -v151
	v_add_f16_e32 v148, v152, v148
	v_mul_f16_e32 v152, 0x3836, v133
	v_fma_f16 v147, v117, s7, v147
	v_fma_f16 v154, v141, s16, -v153
	v_fma_f16 v153, v132, s16, -v152
	v_add_f16_e32 v147, v22, v147
	v_fma_f16 v149, v123, s11, v149
	v_add_f16_e32 v76, v22, v44
	v_add_f16_e32 v148, v153, v148
	v_mul_f16_e32 v153, 0x3bb2, v136
	v_add_f16_e32 v147, v149, v147
	v_fma_f16 v149, v126, s15, v150
	v_add_f16_e32 v76, v76, v40
	v_add_f16_e32 v146, v154, v146
	v_fma_f16 v154, v135, s14, -v153
	v_add_f16_e32 v147, v149, v147
	v_fma_f16 v149, v129, s17, v151
	v_add_f16_e32 v76, v76, v36
	v_add_f16_e32 v148, v154, v148
	v_mul_f16_e32 v154, 0x3b29, v139
	v_add_f16_e32 v147, v149, v147
	v_fma_f16 v149, v132, s16, v152
	v_add_f16_e32 v76, v76, v34
	v_fma_f16 v155, v138, s10, -v154
	v_add_f16_e32 v147, v149, v147
	v_fma_f16 v149, v135, s14, v153
	v_add_f16_e32 v76, v76, v30
	v_add_f16_e32 v148, v155, v148
	v_mul_f16_e32 v155, 0x35c8, v142
	v_add_f16_e32 v147, v149, v147
	v_fma_f16 v149, v138, s10, v154
	v_add_f16_e32 v76, v76, v26
	v_add_f16_e32 v147, v149, v147
	v_fma_f16 v149, v141, s6, v155
	v_mul_f16_e32 v119, 0xb5c8, v119
	v_add_f16_e32 v76, v76, v20
	v_add_f16_e32 v147, v149, v147
	v_fma_f16 v149, v117, s6, -v119
	v_mul_f16_e32 v124, 0xb964, v124
	v_fma_f16 v117, v117, s6, v119
	v_add_f16_e32 v76, v76, v3
	v_add_f16_e32 v149, v22, v149
	v_mul_f16_e32 v127, 0xbb29, v127
	v_add_f16_e32 v22, v22, v117
	v_fma_f16 v117, v123, s7, v124
	v_add_f16_e32 v76, v76, v7
	v_mul_f16_e32 v130, 0xbbf7, v130
	v_add_f16_e32 v22, v117, v22
	v_fma_f16 v117, v126, s10, v127
	v_add_f16_e32 v76, v76, v24
	v_fma_f16 v150, v123, s7, -v124
	v_mul_f16_e32 v133, 0xbbb2, v133
	v_add_f16_e32 v22, v117, v22
	v_fma_f16 v117, v129, s11, v130
	v_add_f16_e32 v76, v76, v28
	v_add_f16_e32 v149, v150, v149
	v_fma_f16 v150, v126, s10, -v127
	v_mul_f16_e32 v136, 0xba62, v136
	v_add_f16_e32 v22, v117, v22
	v_fma_f16 v117, v132, s14, v133
	v_add_f16_e32 v76, v76, v32
	;; [unrolled: 6-line block ×4, first 2 shown]
	v_add_f16_e32 v149, v150, v149
	v_fma_f16 v150, v135, s15, -v136
	v_add_f16_e32 v22, v117, v22
	v_fma_f16 v117, v141, s17, v142
	v_add_f16_e32 v76, v76, v45
	v_add_f16_e32 v149, v150, v149
	v_fma_f16 v150, v138, s16, -v139
	v_add_f16_e32 v22, v117, v22
	v_lshlrev_b32_sdwa v117, v121, v2 dst_sel:DWORD dst_unused:UNUSED_PAD src0_sel:DWORD src1_sel:BYTE_0
	v_add_f16_e32 v76, v76, v48
	v_fma_f16 v156, v141, s6, -v155
	v_add_f16_e32 v149, v150, v149
	v_fma_f16 v150, v141, s17, -v142
	v_add3_u32 v117, 0, v117, v0
	v_add_f16_e32 v148, v156, v148
	v_add_f16_e32 v149, v150, v149
	ds_write_b16 v117, v76 offset:952
	ds_write_b16 v117, v22 offset:966
	;; [unrolled: 1-line block ×17, first 2 shown]
.LBB0_18:
	s_or_b64 exec, exec, s[4:5]
	v_add_f16_e32 v22, v50, v114
	v_add_f16_e32 v22, v22, v110
	;; [unrolled: 1-line block ×17, first 2 shown]
	v_sub_f16_e32 v76, v113, v115
	v_mul_f16_e32 v113, 0x3b76, v22
	v_mul_f16_e32 v115, 0x39e9, v22
	;; [unrolled: 1-line block ×8, first 2 shown]
	v_fma_f16 v114, v76, s31, v113
	v_fma_f16 v113, v76, s28, v113
	;; [unrolled: 1-line block ×16, first 2 shown]
	v_add_f16_e32 v114, v50, v114
	v_add_f16_e32 v113, v50, v113
	;; [unrolled: 1-line block ×17, first 2 shown]
	v_sub_f16_e32 v76, v109, v111
	v_mul_f16_e32 v109, 0x39e9, v50
	v_fma_f16 v110, v76, s29, v109
	v_fma_f16 v109, v76, s25, v109
	v_mul_f16_e32 v111, 0x2de8, v50
	v_add_f16_e32 v109, v109, v113
	v_fma_f16 v112, v76, s21, v111
	v_fma_f16 v111, v76, s18, v111
	v_mul_f16_e32 v113, 0xb8d2, v50
	v_add_f16_e32 v110, v110, v114
	v_add_f16_e32 v111, v111, v115
	v_fma_f16 v114, v76, s27, v113
	v_fma_f16 v113, v76, s23, v113
	v_mul_f16_e32 v115, 0xbbdd, v50
	v_add_f16_e32 v112, v112, v116
	v_add_f16_e32 v113, v113, v119
	v_fma_f16 v116, v76, s34, v115
	v_fma_f16 v115, v76, s33, v115
	v_mul_f16_e32 v119, 0xbacd, v50
	v_add_f16_e32 v114, v114, v120
	v_add_f16_e32 v115, v115, v121
	v_fma_f16 v120, v76, s26, v119
	v_fma_f16 v119, v76, s30, v119
	v_mul_f16_e32 v121, 0xb461, v50
	v_add_f16_e32 v116, v116, v122
	v_add_f16_e32 v119, v119, v123
	v_fma_f16 v122, v76, s19, v121
	v_fma_f16 v121, v76, s22, v121
	v_mul_f16_e32 v123, 0x3722, v50
	v_mul_f16_e32 v50, 0x3b76, v50
	v_add_f16_e32 v121, v121, v125
	v_fma_f16 v125, v76, s28, v50
	v_fma_f16 v50, v76, s31, v50
	v_add_f16_e32 v22, v50, v22
	v_add_f16_e32 v50, v106, v108
	v_add_f16_e32 v120, v120, v124
	v_fma_f16 v124, v76, s20, v123
	v_fma_f16 v123, v76, s24, v123
	v_sub_f16_e32 v76, v105, v107
	v_mul_f16_e32 v105, 0x3722, v50
	v_fma_f16 v106, v76, s24, v105
	v_fma_f16 v105, v76, s20, v105
	v_mul_f16_e32 v107, 0xb8d2, v50
	v_add_f16_e32 v105, v105, v109
	v_fma_f16 v108, v76, s27, v107
	v_fma_f16 v107, v76, s23, v107
	v_mul_f16_e32 v109, 0xbbdd, v50
	v_add_f16_e32 v106, v106, v110
	v_add_f16_e32 v107, v107, v111
	v_fma_f16 v110, v76, s33, v109
	v_fma_f16 v109, v76, s34, v109
	v_mul_f16_e32 v111, 0xb461, v50
	v_add_f16_e32 v108, v108, v112
	v_add_f16_e32 v109, v109, v113
	v_fma_f16 v112, v76, s19, v111
	v_fma_f16 v111, v76, s22, v111
	v_mul_f16_e32 v113, 0x39e9, v50
	v_add_f16_e32 v110, v110, v114
	v_add_f16_e32 v111, v111, v115
	v_fma_f16 v114, v76, s25, v113
	v_fma_f16 v113, v76, s29, v113
	v_mul_f16_e32 v115, 0x3b76, v50
	v_add_f16_e32 v112, v112, v116
	v_add_f16_e32 v113, v113, v119
	v_fma_f16 v116, v76, s31, v115
	v_fma_f16 v115, v76, s28, v115
	v_mul_f16_e32 v119, 0x2de8, v50
	v_mul_f16_e32 v50, 0xbacd, v50
	v_add_f16_e32 v115, v115, v121
	v_fma_f16 v121, v76, s30, v50
	v_fma_f16 v50, v76, s26, v50
	v_add_f16_e32 v22, v50, v22
	v_add_f16_e32 v50, v102, v104
	v_add_f16_e32 v114, v114, v120
	v_fma_f16 v120, v76, s21, v119
	v_fma_f16 v119, v76, s18, v119
	;; [unrolled: 38-line block ×6, first 2 shown]
	v_sub_f16_e32 v76, v81, v83
	v_mul_f16_e32 v81, 0xbbdd, v50
	v_fma_f16 v82, v76, s34, v81
	v_fma_f16 v81, v76, s33, v81
	v_add_f16_e32 v87, v81, v87
	v_mul_f16_e32 v81, 0x3b76, v50
	v_add_f16_e32 v88, v82, v88
	v_fma_f16 v82, v76, s28, v81
	v_fma_f16 v81, v76, s31, v81
	v_add_f16_e32 v89, v81, v89
	v_mul_f16_e32 v81, 0xbacd, v50
	v_add_f16_e32 v90, v82, v90
	v_fma_f16 v82, v76, s30, v81
	v_fma_f16 v81, v76, s26, v81
	v_add_f16_e32 v92, v81, v92
	v_mul_f16_e32 v81, 0x39e9, v50
	v_add_f16_e32 v122, v122, v126
	v_add_f16_e32 v94, v82, v94
	v_fma_f16 v82, v76, s25, v81
	v_fma_f16 v81, v76, s29, v81
	v_add_f16_e32 v123, v123, v127
	v_add_f16_e32 v116, v116, v122
	v_add_f16_e32 v95, v81, v95
	v_mul_f16_e32 v81, 0xb8d2, v50
	v_add_f16_e32 v119, v119, v123
	v_add_f16_e32 v112, v112, v116
	v_add_f16_e32 v96, v82, v96
	v_fma_f16 v82, v76, s27, v81
	v_fma_f16 v81, v76, s23, v81
	v_add_f16_e32 v113, v113, v119
	v_add_f16_e32 v108, v108, v112
	v_add_f16_e32 v97, v81, v97
	v_mul_f16_e32 v81, 0x3722, v50
	v_add_f16_e32 v109, v109, v113
	v_add_f16_e32 v104, v104, v108
	;; [unrolled: 9-line block ×3, first 2 shown]
	v_fma_f16 v82, v76, s22, v81
	v_fma_f16 v81, v76, s19, v81
	v_mul_f16_e32 v50, 0x2de8, v50
	v_add_f16_e32 v101, v81, v101
	v_fma_f16 v81, v76, s18, v50
	v_fma_f16 v50, v76, s21, v50
	v_add_f16_e32 v104, v50, v22
	v_add_f16_e32 v22, v23, v79
	;; [unrolled: 1-line block ×31, first 2 shown]
	v_sub_f16_e32 v50, v77, v91
	v_mul_f16_e32 v76, 0x3b76, v22
	v_mul_f16_e32 v79, 0x39e9, v22
	;; [unrolled: 1-line block ×8, first 2 shown]
	v_add_f16_e32 v103, v81, v103
	v_fma_f16 v77, v50, s31, v76
	v_fma_f16 v76, v50, s28, v76
	;; [unrolled: 1-line block ×16, first 2 shown]
	v_add_f16_e32 v77, v23, v77
	v_add_f16_e32 v76, v23, v76
	v_add_f16_e32 v81, v23, v81
	v_add_f16_e32 v79, v23, v79
	v_add_f16_e32 v83, v23, v83
	v_add_f16_e32 v82, v23, v82
	v_add_f16_e32 v91, v23, v91
	v_add_f16_e32 v84, v23, v84
	v_add_f16_e32 v106, v23, v106
	v_add_f16_e32 v93, v23, v93
	v_add_f16_e32 v108, v23, v108
	v_add_f16_e32 v107, v23, v107
	v_add_f16_e32 v110, v23, v110
	v_add_f16_e32 v109, v23, v109
	v_add_f16_e32 v111, v23, v111
	v_add_f16_e32 v22, v23, v22
	v_add_f16_e32 v23, v75, v86
	v_sub_f16_e32 v50, v74, v85
	v_mul_f16_e32 v74, 0x39e9, v23
	v_fma_f16 v75, v50, s29, v74
	v_fma_f16 v74, v50, s25, v74
	v_add_f16_e32 v74, v74, v76
	v_mul_f16_e32 v76, 0x2de8, v23
	v_add_f16_e32 v75, v75, v77
	v_fma_f16 v77, v50, s21, v76
	v_fma_f16 v76, v50, s18, v76
	v_add_f16_e32 v76, v76, v79
	v_mul_f16_e32 v79, 0xb8d2, v23
	v_add_f16_e32 v77, v77, v81
	;; [unrolled: 5-line block ×3, first 2 shown]
	v_fma_f16 v83, v50, s34, v82
	v_fma_f16 v82, v50, s33, v82
	v_add_f16_e32 v82, v82, v84
	v_mul_f16_e32 v84, 0xbacd, v23
	v_fma_f16 v85, v50, s26, v84
	v_fma_f16 v84, v50, s30, v84
	v_mul_f16_e32 v86, 0xb461, v23
	v_add_f16_e32 v83, v83, v91
	v_add_f16_e32 v84, v84, v93
	v_fma_f16 v91, v50, s19, v86
	v_fma_f16 v86, v50, s22, v86
	v_mul_f16_e32 v93, 0x3722, v23
	v_mul_f16_e32 v23, 0x3b76, v23
	v_add_f16_e32 v86, v86, v107
	v_fma_f16 v107, v50, s28, v23
	v_fma_f16 v23, v50, s31, v23
	v_add_f16_e32 v22, v23, v22
	v_add_f16_e32 v23, v70, v80
	;; [unrolled: 1-line block ×3, first 2 shown]
	v_fma_f16 v106, v50, s20, v93
	v_fma_f16 v93, v50, s24, v93
	v_sub_f16_e32 v50, v69, v78
	v_mul_f16_e32 v69, 0x3722, v23
	v_fma_f16 v70, v50, s24, v69
	v_fma_f16 v69, v50, s20, v69
	v_add_f16_e32 v69, v69, v74
	v_mul_f16_e32 v74, 0xb8d2, v23
	v_add_f16_e32 v70, v70, v75
	v_fma_f16 v75, v50, s27, v74
	v_fma_f16 v74, v50, s23, v74
	v_add_f16_e32 v74, v74, v76
	v_mul_f16_e32 v76, 0xbbdd, v23
	v_add_f16_e32 v75, v75, v77
	v_fma_f16 v77, v50, s33, v76
	v_fma_f16 v76, v50, s34, v76
	v_mul_f16_e32 v78, 0xb461, v23
	v_add_f16_e32 v76, v76, v79
	v_fma_f16 v79, v50, s19, v78
	v_fma_f16 v78, v50, s22, v78
	v_mul_f16_e32 v80, 0x39e9, v23
	v_add_f16_e32 v77, v77, v81
	v_add_f16_e32 v78, v78, v82
	v_fma_f16 v81, v50, s25, v80
	v_fma_f16 v80, v50, s29, v80
	v_mul_f16_e32 v82, 0x3b76, v23
	v_add_f16_e32 v79, v79, v83
	v_add_f16_e32 v80, v80, v84
	v_fma_f16 v83, v50, s31, v82
	v_fma_f16 v82, v50, s28, v82
	v_mul_f16_e32 v84, 0x2de8, v23
	v_mul_f16_e32 v23, 0xbacd, v23
	v_add_f16_e32 v82, v82, v86
	v_fma_f16 v86, v50, s30, v23
	v_fma_f16 v23, v50, s26, v23
	v_add_f16_e32 v22, v23, v22
	v_add_f16_e32 v23, v66, v73
	;; [unrolled: 1-line block ×3, first 2 shown]
	v_fma_f16 v85, v50, s21, v84
	v_fma_f16 v84, v50, s18, v84
	v_sub_f16_e32 v50, v65, v72
	v_mul_f16_e32 v65, 0x2de8, v23
	v_fma_f16 v66, v50, s21, v65
	v_fma_f16 v65, v50, s18, v65
	v_add_f16_e32 v65, v65, v69
	v_mul_f16_e32 v69, 0xbbdd, v23
	v_add_f16_e32 v66, v66, v70
	v_fma_f16 v70, v50, s34, v69
	v_fma_f16 v69, v50, s33, v69
	v_mul_f16_e32 v72, 0xb461, v23
	v_add_f16_e32 v69, v69, v74
	v_fma_f16 v73, v50, s19, v72
	v_fma_f16 v72, v50, s22, v72
	v_mul_f16_e32 v74, 0x3b76, v23
	v_add_f16_e32 v70, v70, v75
	v_add_f16_e32 v72, v72, v76
	v_fma_f16 v75, v50, s28, v74
	v_fma_f16 v74, v50, s31, v74
	v_mul_f16_e32 v76, 0x3722, v23
	v_add_f16_e32 v73, v73, v77
	;; [unrolled: 5-line block ×3, first 2 shown]
	v_add_f16_e32 v76, v76, v80
	v_fma_f16 v79, v50, s30, v78
	v_fma_f16 v78, v50, s26, v78
	v_mul_f16_e32 v80, 0xb8d2, v23
	v_mul_f16_e32 v23, 0x39e9, v23
	v_add_f16_e32 v78, v78, v82
	v_fma_f16 v82, v50, s25, v23
	v_fma_f16 v23, v50, s29, v23
	v_add_f16_e32 v22, v23, v22
	v_add_f16_e32 v23, v64, v68
	;; [unrolled: 1-line block ×3, first 2 shown]
	v_fma_f16 v81, v50, s23, v80
	v_fma_f16 v80, v50, s27, v80
	v_sub_f16_e32 v50, v61, v67
	v_mul_f16_e32 v61, 0xb461, v23
	v_fma_f16 v64, v50, s22, v61
	v_fma_f16 v61, v50, s19, v61
	v_add_f16_e32 v61, v61, v65
	v_mul_f16_e32 v65, 0xbacd, v23
	v_add_f16_e32 v64, v64, v66
	v_fma_f16 v66, v50, s26, v65
	v_fma_f16 v65, v50, s30, v65
	v_mul_f16_e32 v67, 0x39e9, v23
	v_add_f16_e32 v65, v65, v69
	v_fma_f16 v68, v50, s25, v67
	v_fma_f16 v67, v50, s29, v67
	v_mul_f16_e32 v69, 0x3722, v23
	v_add_f16_e32 v66, v66, v70
	v_add_f16_e32 v67, v67, v72
	v_fma_f16 v70, v50, s24, v69
	v_fma_f16 v69, v50, s20, v69
	v_mul_f16_e32 v72, 0xbbdd, v23
	v_add_f16_e32 v68, v68, v73
	v_add_f16_e32 v69, v69, v74
	v_fma_f16 v73, v50, s34, v72
	v_fma_f16 v72, v50, s33, v72
	v_mul_f16_e32 v74, 0x2de8, v23
	v_add_f16_e32 v70, v70, v75
	v_add_f16_e32 v72, v72, v76
	v_fma_f16 v75, v50, s18, v74
	v_fma_f16 v74, v50, s21, v74
	v_mul_f16_e32 v76, 0x3b76, v23
	v_mul_f16_e32 v23, 0xb8d2, v23
	v_add_f16_e32 v74, v74, v78
	v_fma_f16 v78, v50, s27, v23
	v_fma_f16 v23, v50, s23, v23
	v_add_f16_e32 v22, v23, v22
	v_add_f16_e32 v23, v60, v63
	;; [unrolled: 1-line block ×3, first 2 shown]
	v_fma_f16 v77, v50, s31, v76
	v_fma_f16 v76, v50, s28, v76
	v_sub_f16_e32 v50, v59, v62
	v_mul_f16_e32 v59, 0xb8d2, v23
	v_fma_f16 v60, v50, s27, v59
	v_fma_f16 v59, v50, s23, v59
	v_add_f16_e32 v59, v59, v61
	v_mul_f16_e32 v61, 0xb461, v23
	v_fma_f16 v62, v50, s19, v61
	v_fma_f16 v61, v50, s22, v61
	v_mul_f16_e32 v63, 0x3b76, v23
	v_add_f16_e32 v60, v60, v64
	v_add_f16_e32 v61, v61, v65
	v_fma_f16 v64, v50, s31, v63
	v_fma_f16 v63, v50, s28, v63
	v_mul_f16_e32 v65, 0xbacd, v23
	v_add_f16_e32 v62, v62, v66
	v_add_f16_e32 v63, v63, v67
	;; [unrolled: 5-line block ×4, first 2 shown]
	v_fma_f16 v70, v50, s29, v69
	v_fma_f16 v69, v50, s25, v69
	v_mul_f16_e32 v72, 0xbbdd, v23
	v_mul_f16_e32 v23, 0x3722, v23
	v_add_f16_e32 v69, v69, v74
	v_fma_f16 v74, v50, s20, v23
	v_fma_f16 v23, v50, s24, v23
	v_add_f16_e32 v22, v23, v22
	v_add_f16_e32 v23, v56, v58
	;; [unrolled: 1-line block ×3, first 2 shown]
	v_fma_f16 v73, v50, s34, v72
	v_fma_f16 v72, v50, s33, v72
	v_sub_f16_e32 v50, v55, v57
	v_mul_f16_e32 v55, 0xbacd, v23
	v_fma_f16 v56, v50, s30, v55
	v_fma_f16 v55, v50, s26, v55
	v_mul_f16_e32 v57, 0x3722, v23
	v_add_f16_e32 v55, v55, v59
	v_fma_f16 v58, v50, s20, v57
	v_fma_f16 v57, v50, s24, v57
	v_mul_f16_e32 v59, 0x2de8, v23
	v_add_f16_e32 v56, v56, v60
	v_add_f16_e32 v57, v57, v61
	v_fma_f16 v60, v50, s21, v59
	v_fma_f16 v59, v50, s18, v59
	v_mul_f16_e32 v61, 0xb8d2, v23
	v_add_f16_e32 v58, v58, v62
	;; [unrolled: 5-line block ×4, first 2 shown]
	v_add_f16_e32 v63, v63, v67
	v_fma_f16 v66, v50, s34, v65
	v_fma_f16 v65, v50, s33, v65
	v_mul_f16_e32 v67, 0x39e9, v23
	v_mul_f16_e32 v23, 0xb461, v23
	v_add_f16_e32 v65, v65, v69
	v_fma_f16 v69, v50, s22, v23
	v_fma_f16 v23, v50, s19, v23
	v_add_f16_e32 v22, v23, v22
	v_add_f16_e32 v23, v52, v54
	;; [unrolled: 1-line block ×3, first 2 shown]
	v_fma_f16 v68, v50, s25, v67
	v_fma_f16 v67, v50, s29, v67
	v_sub_f16_e32 v50, v51, v53
	v_mul_f16_e32 v51, 0xbbdd, v23
	v_add_f16_e32 v93, v93, v109
	v_fma_f16 v52, v50, s34, v51
	v_fma_f16 v51, v50, s33, v51
	v_add_f16_e32 v91, v91, v108
	v_add_f16_e32 v84, v84, v93
	v_add_f16_e32 v93, v51, v55
	v_mul_f16_e32 v51, 0x3b76, v23
	v_add_f16_e32 v107, v107, v111
	v_add_f16_e32 v83, v83, v91
	v_add_f16_e32 v91, v52, v56
	v_fma_f16 v52, v50, s28, v51
	v_fma_f16 v51, v50, s31, v51
	v_add_f16_e32 v106, v106, v110
	v_add_f16_e32 v86, v86, v107
	;; [unrolled: 1-line block ×3, first 2 shown]
	v_mul_f16_e32 v51, 0xbacd, v23
	v_add_f16_e32 v85, v85, v106
	v_add_f16_e32 v106, v52, v58
	v_fma_f16 v52, v50, s30, v51
	v_fma_f16 v51, v50, s26, v51
	v_add_f16_e32 v109, v51, v59
	v_mul_f16_e32 v51, 0x39e9, v23
	v_add_f16_e32 v108, v52, v60
	v_fma_f16 v52, v50, s25, v51
	v_fma_f16 v51, v50, s29, v51
	v_add_f16_e32 v111, v51, v61
	v_mul_f16_e32 v51, 0xb8d2, v23
	v_add_f16_e32 v79, v79, v83
	v_add_f16_e32 v110, v52, v62
	v_fma_f16 v52, v50, s27, v51
	v_fma_f16 v51, v50, s23, v51
	v_add_f16_e32 v80, v80, v84
	v_add_f16_e32 v75, v75, v79
	;; [unrolled: 1-line block ×3, first 2 shown]
	v_mul_f16_e32 v51, 0x3722, v23
	v_add_f16_e32 v76, v76, v80
	v_add_f16_e32 v70, v70, v75
	;; [unrolled: 1-line block ×3, first 2 shown]
	v_fma_f16 v52, v50, s20, v51
	v_fma_f16 v51, v50, s24, v51
	v_add_f16_e32 v72, v72, v76
	v_add_f16_e32 v66, v66, v70
	;; [unrolled: 1-line block ×3, first 2 shown]
	v_mul_f16_e32 v51, 0xb461, v23
	v_add_f16_e32 v67, v67, v72
	v_add_f16_e32 v114, v52, v66
	v_fma_f16 v52, v50, s22, v51
	v_fma_f16 v51, v50, s19, v51
	v_mul_f16_e32 v23, 0x2de8, v23
	v_add_f16_e32 v81, v81, v85
	v_add_f16_e32 v82, v82, v86
	v_add_f16_e32 v119, v51, v67
	v_fma_f16 v51, v50, s18, v23
	v_fma_f16 v23, v50, s21, v23
	v_add_f16_e32 v77, v77, v81
	v_add_f16_e32 v78, v78, v82
	;; [unrolled: 1-line block ×3, first 2 shown]
	v_lshlrev_b32_e32 v22, 1, v14
	v_add_f16_e32 v73, v73, v77
	v_add_f16_e32 v74, v74, v78
	v_add3_u32 v64, 0, v22, v0
	v_lshlrev_b32_e32 v22, 1, v15
	v_add_f16_e32 v68, v68, v73
	v_add_f16_e32 v69, v69, v74
	v_add3_u32 v70, 0, v22, v0
	v_lshlrev_b32_e32 v22, 1, v13
	v_add_f16_e32 v116, v52, v68
	v_add_f16_e32 v120, v51, v69
	s_waitcnt lgkmcnt(0)
	; wave barrier
	s_waitcnt lgkmcnt(0)
	v_add3_u32 v72, 0, v22, v0
	ds_read_u16 v57, v64
	ds_read_u16 v63, v70
	;; [unrolled: 1-line block ×3, first 2 shown]
	ds_read_u16 v54, v16 offset:272
	ds_read_u16 v59, v16 offset:306
	;; [unrolled: 1-line block ×4, first 2 shown]
	ds_read_u16 v22, v17
	ds_read_u16 v77, v16 offset:170
	ds_read_u16 v23, v16 offset:238
	;; [unrolled: 1-line block ×25, first 2 shown]
	ds_read_u16 v53, v18
	ds_read_u16 v86, v16 offset:1156
	s_waitcnt lgkmcnt(0)
	; wave barrier
	s_waitcnt lgkmcnt(0)
	ds_write_b16 v118, v117
	ds_write_b16 v118, v88 offset:14
	ds_write_b16 v118, v90 offset:28
	;; [unrolled: 1-line block ×16, first 2 shown]
	ds_write_b16 v71, v105
	ds_write_b16 v71, v91 offset:14
	ds_write_b16 v71, v106 offset:28
	;; [unrolled: 1-line block ×16, first 2 shown]
	s_and_saveexec_b64 s[4:5], s[0:1]
	s_cbranch_execz .LBB0_20
; %bb.19:
	v_add_f16_e32 v71, v1, v46
	v_add_f16_e32 v71, v71, v41
	;; [unrolled: 1-line block ×16, first 2 shown]
	v_sub_f16_e32 v44, v44, v48
	v_mul_f16_e32 v48, 0x3b76, v46
	s_movk_i32 s11, 0x35c8
	s_mov_b32 s15, 0xb5c8
	v_mul_f16_e32 v87, 0x39e9, v46
	s_movk_i32 s7, 0x3964
	s_mov_b32 s14, 0xb964
	;; [unrolled: 3-line block ×8, first 2 shown]
	v_add_f16_e32 v71, v71, v49
	v_fma_f16 v49, v44, s11, v48
	v_fma_f16 v48, v44, s15, v48
	;; [unrolled: 1-line block ×16, first 2 shown]
	v_add_f16_e32 v41, v41, v47
	v_add_f16_e32 v49, v1, v49
	;; [unrolled: 1-line block ×17, first 2 shown]
	v_sub_f16_e32 v40, v40, v45
	v_mul_f16_e32 v44, 0x39e9, v41
	v_fma_f16 v45, v40, s7, v44
	v_fma_f16 v44, v40, s14, v44
	v_mul_f16_e32 v46, 0x2de8, v41
	v_add_f16_e32 v44, v44, v48
	v_fma_f16 v47, v40, s0, v46
	v_fma_f16 v46, v40, s6, v46
	v_mul_f16_e32 v48, 0xb8d2, v41
	v_add_f16_e32 v45, v45, v49
	v_add_f16_e32 v46, v46, v87
	v_fma_f16 v49, v40, s18, v48
	v_fma_f16 v48, v40, s19, v48
	v_mul_f16_e32 v87, 0xbbdd, v41
	v_add_f16_e32 v47, v47, v88
	;; [unrolled: 5-line block ×4, first 2 shown]
	v_add_f16_e32 v89, v89, v93
	v_fma_f16 v92, v40, s17, v91
	v_fma_f16 v91, v40, s16, v91
	v_mul_f16_e32 v93, 0x3722, v41
	v_mul_f16_e32 v41, 0x3b76, v41
	v_add_f16_e32 v90, v90, v94
	v_add_f16_e32 v91, v91, v95
	v_fma_f16 v94, v40, s10, v93
	v_fma_f16 v93, v40, s1, v93
	;; [unrolled: 1-line block ×4, first 2 shown]
	v_add_f16_e32 v38, v38, v43
	v_add_f16_e32 v1, v40, v1
	v_sub_f16_e32 v36, v36, v42
	v_mul_f16_e32 v40, 0x3722, v38
	v_fma_f16 v41, v36, s1, v40
	v_fma_f16 v40, v36, s10, v40
	v_mul_f16_e32 v42, 0xb8d2, v38
	v_add_f16_e32 v40, v40, v44
	v_fma_f16 v43, v36, s18, v42
	v_fma_f16 v42, v36, s19, v42
	v_mul_f16_e32 v44, 0xbbdd, v38
	v_add_f16_e32 v41, v41, v45
	v_add_f16_e32 v42, v42, v46
	v_fma_f16 v45, v36, s23, v44
	v_fma_f16 v44, v36, s22, v44
	v_mul_f16_e32 v46, 0xb461, v38
	v_add_f16_e32 v43, v43, v47
	;; [unrolled: 5-line block ×4, first 2 shown]
	v_add_f16_e32 v48, v48, v89
	v_fma_f16 v88, v36, s11, v87
	v_fma_f16 v87, v36, s15, v87
	v_mul_f16_e32 v89, 0x2de8, v38
	v_mul_f16_e32 v38, 0xbacd, v38
	v_add_f16_e32 v49, v49, v90
	v_add_f16_e32 v87, v87, v91
	v_fma_f16 v90, v36, s0, v89
	v_fma_f16 v89, v36, s6, v89
	;; [unrolled: 1-line block ×4, first 2 shown]
	v_add_f16_e32 v35, v35, v39
	v_add_f16_e32 v1, v36, v1
	v_sub_f16_e32 v34, v34, v37
	v_mul_f16_e32 v36, 0x2de8, v35
	v_fma_f16 v37, v34, s0, v36
	v_fma_f16 v36, v34, s6, v36
	v_mul_f16_e32 v38, 0xbbdd, v35
	v_add_f16_e32 v36, v36, v40
	v_fma_f16 v39, v34, s22, v38
	v_fma_f16 v38, v34, s23, v38
	v_mul_f16_e32 v40, 0xb461, v35
	v_add_f16_e32 v37, v37, v41
	v_add_f16_e32 v38, v38, v42
	v_fma_f16 v41, v34, s17, v40
	v_fma_f16 v40, v34, s16, v40
	v_mul_f16_e32 v42, 0x3b76, v35
	v_add_f16_e32 v39, v39, v43
	v_add_f16_e32 v40, v40, v44
	v_fma_f16 v43, v34, s15, v42
	v_fma_f16 v42, v34, s11, v42
	v_mul_f16_e32 v44, 0x3722, v35
	v_add_f16_e32 v41, v41, v45
	v_add_f16_e32 v42, v42, v46
	v_fma_f16 v45, v34, s1, v44
	v_fma_f16 v44, v34, s10, v44
	v_mul_f16_e32 v46, 0xbacd, v35
	v_add_f16_e32 v43, v43, v47
	v_add_f16_e32 v44, v44, v48
	v_fma_f16 v47, v34, s20, v46
	v_fma_f16 v46, v34, s21, v46
	v_mul_f16_e32 v48, 0xb8d2, v35
	v_mul_f16_e32 v35, 0x39e9, v35
	v_add_f16_e32 v31, v31, v33
	v_add_f16_e32 v45, v45, v49
	v_add_f16_e32 v46, v46, v87
	v_fma_f16 v49, v34, s19, v48
	v_fma_f16 v48, v34, s18, v48
	v_fma_f16 v87, v34, s14, v35
	v_fma_f16 v34, v34, s7, v35
	v_sub_f16_e32 v30, v30, v32
	v_mul_f16_e32 v32, 0xb461, v31
	v_add_f16_e32 v1, v34, v1
	v_fma_f16 v33, v30, s16, v32
	v_fma_f16 v32, v30, s17, v32
	v_mul_f16_e32 v34, 0xbacd, v31
	v_add_f16_e32 v32, v32, v36
	v_fma_f16 v35, v30, s21, v34
	v_fma_f16 v34, v30, s20, v34
	v_mul_f16_e32 v36, 0x39e9, v31
	v_add_f16_e32 v33, v33, v37
	v_add_f16_e32 v34, v34, v38
	v_fma_f16 v37, v30, s14, v36
	v_fma_f16 v36, v30, s7, v36
	v_mul_f16_e32 v38, 0x3722, v31
	v_add_f16_e32 v35, v35, v39
	v_add_f16_e32 v36, v36, v40
	v_fma_f16 v39, v30, s1, v38
	v_fma_f16 v38, v30, s10, v38
	v_mul_f16_e32 v40, 0xbbdd, v31
	v_add_f16_e32 v37, v37, v41
	v_add_f16_e32 v38, v38, v42
	v_fma_f16 v41, v30, s22, v40
	v_fma_f16 v40, v30, s23, v40
	v_mul_f16_e32 v42, 0x2de8, v31
	v_add_f16_e32 v39, v39, v43
	v_add_f16_e32 v40, v40, v44
	v_fma_f16 v43, v30, s6, v42
	v_fma_f16 v42, v30, s0, v42
	v_mul_f16_e32 v44, 0x3b76, v31
	v_mul_f16_e32 v31, 0xb8d2, v31
	v_add_f16_e32 v27, v27, v29
	v_add_f16_e32 v41, v41, v45
	v_add_f16_e32 v42, v42, v46
	v_fma_f16 v45, v30, s11, v44
	v_fma_f16 v44, v30, s15, v44
	v_fma_f16 v46, v30, s18, v31
	v_fma_f16 v30, v30, s19, v31
	v_sub_f16_e32 v26, v26, v28
	v_mul_f16_e32 v28, 0xb8d2, v27
	v_add_f16_e32 v1, v30, v1
	;; [unrolled: 38-line block ×4, first 2 shown]
	v_fma_f16 v19, v3, s22, v7
	v_fma_f16 v7, v3, s23, v7
	v_mul_f16_e32 v20, 0x3b76, v6
	v_add_f16_e32 v7, v7, v24
	v_fma_f16 v21, v3, s15, v20
	v_fma_f16 v20, v3, s11, v20
	v_mul_f16_e32 v24, 0xbacd, v6
	v_add_f16_e32 v19, v19, v25
	v_add_f16_e32 v20, v20, v26
	v_fma_f16 v25, v3, s20, v24
	v_fma_f16 v24, v3, s21, v24
	v_mul_f16_e32 v26, 0x39e9, v6
	v_add_f16_e32 v21, v21, v27
	;; [unrolled: 5-line block ×3, first 2 shown]
	v_add_f16_e32 v94, v94, v98
	v_add_f16_e32 v93, v93, v97
	;; [unrolled: 1-line block ×5, first 2 shown]
	v_fma_f16 v29, v3, s18, v28
	v_fma_f16 v28, v3, s19, v28
	v_mul_f16_e32 v30, 0x3722, v6
	v_add_f16_e32 v88, v88, v92
	v_add_f16_e32 v90, v90, v94
	;; [unrolled: 1-line block ×6, first 2 shown]
	v_fma_f16 v31, v3, s10, v30
	v_fma_f16 v30, v3, s1, v30
	v_mul_f16_e32 v32, 0xb461, v6
	v_mul_f16_e32 v6, 0x2de8, v6
	v_add_f16_e32 v47, v47, v88
	v_add_f16_e32 v49, v49, v90
	;; [unrolled: 1-line block ×6, first 2 shown]
	v_fma_f16 v33, v3, s16, v32
	v_fma_f16 v32, v3, s17, v32
	;; [unrolled: 1-line block ×4, first 2 shown]
	v_add_f16_e32 v43, v43, v47
	v_add_f16_e32 v45, v45, v49
	;; [unrolled: 1-line block ×5, first 2 shown]
	v_mov_b32_e32 v3, 1
	v_add_f16_e32 v39, v39, v43
	v_add_f16_e32 v41, v41, v45
	;; [unrolled: 1-line block ×4, first 2 shown]
	v_lshlrev_b32_sdwa v2, v3, v2 dst_sel:DWORD dst_unused:UNUSED_PAD src0_sel:DWORD src1_sel:BYTE_0
	v_add_f16_e32 v35, v35, v39
	v_add_f16_e32 v37, v37, v41
	;; [unrolled: 1-line block ×4, first 2 shown]
	v_add3_u32 v0, 0, v2, v0
	v_add_f16_e32 v31, v31, v35
	v_add_f16_e32 v33, v33, v37
	;; [unrolled: 1-line block ×4, first 2 shown]
	ds_write_b16 v0, v71 offset:952
	ds_write_b16 v0, v19 offset:966
	;; [unrolled: 1-line block ×17, first 2 shown]
.LBB0_20:
	s_or_b64 exec, exec, s[4:5]
	s_waitcnt lgkmcnt(0)
	; wave barrier
	s_waitcnt lgkmcnt(0)
	s_and_saveexec_b64 s[0:1], vcc
	s_cbranch_execz .LBB0_22
; %bb.21:
	v_add_u32_e32 v19, 0x66, v8
	v_lshlrev_b32_e32 v6, 2, v19
	v_mov_b32_e32 v7, 0
	v_lshlrev_b64 v[0:1], 2, v[6:7]
	v_mov_b32_e32 v30, s9
	v_add_co_u32_e32 v0, vcc, s8, v0
	v_addc_co_u32_e32 v1, vcc, v30, v1, vcc
	global_load_dwordx4 v[0:3], v[0:1], off offset:448
	v_add_u32_e32 v20, 0x55, v8
	v_lshlrev_b32_e32 v6, 2, v20
	v_lshlrev_b64 v[25:26], 2, v[6:7]
	ds_read_u16 v21, v16 offset:680
	ds_read_u16 v24, v16 offset:204
	v_add_co_u32_e32 v25, vcc, s8, v25
	v_addc_co_u32_e32 v26, vcc, v30, v26, vcc
	ds_read_u16 v28, v16 offset:646
	ds_read_u16 v36, v16 offset:612
	;; [unrolled: 1-line block ×8, first 2 shown]
	ds_read_u16 v89, v18
	ds_read_u16 v18, v16 offset:1156
	ds_read_u16 v35, v16 offset:1122
	;; [unrolled: 1-line block ×7, first 2 shown]
	global_load_dwordx4 v[31:34], v[25:26], off offset:448
	ds_read_u16 v6, v16 offset:918
	ds_read_u16 v41, v16 offset:884
	ds_read_u16 v44, v16 offset:850
	ds_read_u16 v93, v16 offset:816
	ds_read_u16 v94, v16 offset:782
	ds_read_u16 v95, v16 offset:748
	ds_read_u16 v96, v16 offset:714
	s_movk_i32 s5, 0x3b9c
	s_movk_i32 s6, 0x38b4
	s_mov_b32 s0, 0xbb9c
	s_movk_i32 s4, 0x34f2
	s_mov_b32 s1, 0xb8b4
	ds_read_u16 v72, v72
	ds_read_u16 v70, v70
	s_waitcnt vmcnt(1)
	v_mul_f16_sdwa v25, v83, v0 dst_sel:DWORD dst_unused:UNUSED_PAD src0_sel:DWORD src1_sel:WORD_1
	v_mul_f16_sdwa v26, v85, v1 dst_sel:DWORD dst_unused:UNUSED_PAD src0_sel:DWORD src1_sel:WORD_1
	;; [unrolled: 1-line block ×4, first 2 shown]
	s_waitcnt lgkmcnt(14)
	v_mul_f16_sdwa v39, v27, v0 dst_sel:DWORD dst_unused:UNUSED_PAD src0_sel:DWORD src1_sel:WORD_1
	v_mul_f16_sdwa v40, v18, v3 dst_sel:DWORD dst_unused:UNUSED_PAD src0_sel:DWORD src1_sel:WORD_1
	;; [unrolled: 1-line block ×3, first 2 shown]
	s_waitcnt lgkmcnt(8)
	v_mul_f16_sdwa v45, v6, v2 dst_sel:DWORD dst_unused:UNUSED_PAD src0_sel:DWORD src1_sel:WORD_1
	v_fma_f16 v25, v27, v0, -v25
	v_fma_f16 v26, v21, v1, -v26
	;; [unrolled: 1-line block ×4, first 2 shown]
	v_fma_f16 v27, v83, v0, v39
	v_fma_f16 v37, v86, v3, v40
	;; [unrolled: 1-line block ×4, first 2 shown]
	v_add_f16_e32 v3, v26, v6
	v_sub_f16_e32 v83, v26, v25
	v_sub_f16_e32 v84, v6, v18
	v_add_f16_e32 v85, v25, v18
	v_fma_f16 v97, v3, -0.5, v24
	v_add_f16_e32 v83, v83, v84
	v_fma_f16 v84, v85, -0.5, v24
	v_add_f16_e32 v24, v25, v24
	v_add_f16_e32 v24, v26, v24
	v_sub_f16_e32 v1, v18, v6
	v_sub_f16_e32 v48, v26, v6
	v_add_f16_e32 v6, v6, v24
	v_sub_f16_e32 v0, v25, v26
	v_sub_f16_e32 v21, v27, v38
	;; [unrolled: 1-line block ×3, first 2 shown]
	v_add_f16_e32 v26, v18, v6
	v_add_f16_e32 v6, v82, v27
	v_sub_f16_e32 v39, v27, v37
	v_add_f16_e32 v42, v21, v42
	v_sub_f16_e32 v21, v38, v27
	v_sub_f16_e32 v85, v2, v37
	v_add_f16_e32 v6, v6, v38
	v_sub_f16_e32 v40, v38, v2
	v_add_f16_e32 v45, v38, v2
	v_add_f16_e32 v85, v21, v85
	;; [unrolled: 1-line block ×4, first 2 shown]
	v_fma_f16 v6, v39, s5, v97
	v_add_f16_e32 v86, v0, v1
	v_fma_f16 v98, v21, -0.5, v82
	v_fma_f16 v6, v40, s6, v6
	v_sub_f16_e32 v47, v25, v18
	v_fma_f16 v24, v86, s4, v6
	v_fma_f16 v6, v48, s0, v98
	v_fma_f16 v45, v45, -0.5, v82
	v_fma_f16 v6, v47, s6, v6
	v_fma_f16 v18, v85, s4, v6
	;; [unrolled: 1-line block ×8, first 2 shown]
	s_waitcnt vmcnt(0)
	v_mul_f16_sdwa v6, v79, v31 dst_sel:DWORD dst_unused:UNUSED_PAD src0_sel:DWORD src1_sel:WORD_1
	v_fma_f16 v3, v40, s0, v84
	v_fma_f16 v1, v42, s4, v1
	;; [unrolled: 1-line block ×3, first 2 shown]
	v_add_f16_e32 v27, v37, v2
	v_fma_f16 v2, v40, s5, v84
	v_fma_f16 v42, v29, v31, -v6
	v_mul_f16_sdwa v45, v78, v32 dst_sel:DWORD dst_unused:UNUSED_PAD src0_sel:DWORD src1_sel:WORD_1
	v_lshlrev_b32_e32 v6, 2, v13
	ds_read_u16 v47, v16 offset:1088
	ds_read_u16 v84, v17
	ds_read_u16 v82, v16 offset:170
	v_lshlrev_b64 v[37:38], 2, v[6:7]
	v_fma_f16 v6, v28, v32, -v45
	v_mul_f16_sdwa v45, v80, v34 dst_sel:DWORD dst_unused:UNUSED_PAD src0_sel:DWORD src1_sel:WORD_1
	v_mul_f16_sdwa v48, v81, v33 dst_sel:DWORD dst_unused:UNUSED_PAD src0_sel:DWORD src1_sel:WORD_1
	v_fma_f16 v3, v39, s6, v3
	v_fma_f16 v2, v39, s1, v2
	v_fma_f16 v45, v35, v34, -v45
	s_waitcnt lgkmcnt(10)
	v_fma_f16 v48, v41, v33, -v48
	v_fma_f16 v3, v83, s4, v3
	v_fma_f16 v2, v83, s4, v2
	v_sub_f16_e32 v13, v42, v6
	v_sub_f16_e32 v83, v45, v48
	v_add_f16_e32 v83, v13, v83
	v_add_f16_e32 v13, v6, v48
	v_fma_f16 v21, v85, s4, v21
	s_waitcnt lgkmcnt(0)
	v_fma_f16 v85, v13, -0.5, v82
	v_mul_f16_sdwa v13, v29, v31 dst_sel:DWORD dst_unused:UNUSED_PAD src0_sel:DWORD src1_sel:WORD_1
	v_mul_f16_sdwa v17, v28, v32 dst_sel:DWORD dst_unused:UNUSED_PAD src0_sel:DWORD src1_sel:WORD_1
	v_add_co_u32_e32 v37, vcc, s8, v37
	v_fma_f16 v31, v79, v31, v13
	v_mul_f16_sdwa v13, v35, v34 dst_sel:DWORD dst_unused:UNUSED_PAD src0_sel:DWORD src1_sel:WORD_1
	v_fma_f16 v32, v78, v32, v17
	v_mul_f16_sdwa v17, v41, v33 dst_sel:DWORD dst_unused:UNUSED_PAD src0_sel:DWORD src1_sel:WORD_1
	v_fma_f16 v0, v39, s0, v97
	v_addc_co_u32_e32 v38, vcc, v30, v38, vcc
	v_fma_f16 v34, v80, v34, v13
	v_fma_f16 v41, v81, v33, v17
	;; [unrolled: 1-line block ×3, first 2 shown]
	global_load_dwordx4 v[37:40], v[37:38], off offset:448
	v_sub_f16_e32 v17, v31, v32
	v_sub_f16_e32 v28, v34, v41
	v_add_f16_e32 v81, v17, v28
	v_sub_f16_e32 v28, v6, v42
	v_sub_f16_e32 v29, v48, v45
	v_add_f16_e32 v79, v28, v29
	;; [unrolled: 3-line block ×3, first 2 shown]
	v_add_f16_e32 v33, v42, v82
	v_sub_f16_e32 v98, v6, v48
	v_add_f16_e32 v6, v6, v33
	v_add_f16_e32 v6, v48, v6
	;; [unrolled: 1-line block ×6, first 2 shown]
	v_sub_f16_e32 v78, v32, v41
	v_fma_f16 v80, v28, -0.5, v82
	v_add_f16_e32 v6, v6, v41
	v_sub_f16_e32 v35, v31, v34
	v_add_f16_e32 v29, v31, v34
	v_add_f16_e32 v34, v34, v6
	v_fma_f16 v6, v78, s0, v80
	v_fma_f16 v6, v35, s6, v6
	;; [unrolled: 1-line block ×4, first 2 shown]
	v_fma_f16 v100, v29, -0.5, v77
	v_fma_f16 v6, v78, s6, v6
	v_add_f16_e32 v17, v32, v41
	v_sub_f16_e32 v97, v42, v45
	v_fma_f16 v28, v78, s5, v80
	v_fma_f16 v32, v83, s4, v6
	;; [unrolled: 1-line block ×6, first 2 shown]
	v_lshlrev_b32_e32 v6, 2, v15
	v_lshlrev_b64 v[41:42], 2, v[6:7]
	v_fma_f16 v0, v86, s4, v0
	v_add_co_u32_e32 v41, vcc, s8, v41
	v_addc_co_u32_e32 v42, vcc, v30, v42, vcc
	v_fma_f16 v13, v78, s1, v13
	v_fma_f16 v86, v17, -0.5, v77
	v_fma_f16 v28, v79, s4, v28
	global_load_dwordx4 v[77:80], v[41:42], off offset:448
	v_fma_f16 v6, v97, s0, v86
	v_fma_f16 v6, v98, s1, v6
	;; [unrolled: 1-line block ×11, first 2 shown]
	ds_read_u16 v81, v16 offset:1054
	v_pack_b32_f16 v2, v18, v2
	v_pack_b32_f16 v0, v1, v0
	s_waitcnt vmcnt(1)
	v_mul_f16_sdwa v42, v75, v40 dst_sel:DWORD dst_unused:UNUSED_PAD src0_sel:DWORD src1_sel:WORD_1
	v_mul_f16_sdwa v6, v73, v37 dst_sel:DWORD dst_unused:UNUSED_PAD src0_sel:DWORD src1_sel:WORD_1
	;; [unrolled: 1-line block ×3, first 2 shown]
	v_fma_f16 v48, v47, v40, -v42
	v_mul_f16_sdwa v42, v76, v39 dst_sel:DWORD dst_unused:UNUSED_PAD src0_sel:DWORD src1_sel:WORD_1
	v_fma_f16 v6, v43, v37, -v6
	v_fma_f16 v45, v36, v38, -v41
	;; [unrolled: 1-line block ×3, first 2 shown]
	v_sub_f16_e32 v41, v6, v45
	v_sub_f16_e32 v42, v48, v82
	v_add_f16_e32 v42, v41, v42
	v_add_f16_e32 v41, v45, v82
	v_fma_f16 v83, v41, -0.5, v72
	v_mul_f16_sdwa v41, v43, v37 dst_sel:DWORD dst_unused:UNUSED_PAD src0_sel:DWORD src1_sel:WORD_1
	v_fma_f16 v73, v73, v37, v41
	v_mul_f16_sdwa v37, v47, v40 dst_sel:DWORD dst_unused:UNUSED_PAD src0_sel:DWORD src1_sel:WORD_1
	v_mul_f16_sdwa v36, v36, v38 dst_sel:DWORD dst_unused:UNUSED_PAD src0_sel:DWORD src1_sel:WORD_1
	v_fma_f16 v47, v75, v40, v37
	v_fma_f16 v74, v74, v38, v36
	v_mul_f16_sdwa v36, v44, v39 dst_sel:DWORD dst_unused:UNUSED_PAD src0_sel:DWORD src1_sel:WORD_1
	v_sub_f16_e32 v43, v73, v47
	v_fma_f16 v75, v76, v39, v36
	v_fma_f16 v37, v43, s0, v83
	v_sub_f16_e32 v44, v74, v75
	v_fma_f16 v36, v44, s1, v37
	v_sub_f16_e32 v37, v73, v74
	v_sub_f16_e32 v38, v47, v75
	v_add_f16_e32 v76, v37, v38
	v_sub_f16_e32 v38, v45, v6
	v_sub_f16_e32 v39, v82, v48
	v_add_f16_e32 v40, v38, v39
	v_add_f16_e32 v38, v6, v48
	v_sub_f16_e32 v86, v6, v48
	v_fma_f16 v41, v38, -0.5, v72
	v_add_f16_e32 v6, v6, v72
	v_fma_f16 v38, v44, s5, v41
	v_fma_f16 v41, v44, s0, v41
	v_add_f16_e32 v6, v45, v6
	v_fma_f16 v38, v43, s1, v38
	v_fma_f16 v41, v43, s6, v41
	;; [unrolled: 1-line block ×3, first 2 shown]
	v_add_f16_e32 v6, v82, v6
	v_fma_f16 v43, v44, s6, v43
	v_add_f16_e32 v44, v48, v6
	v_add_f16_e32 v6, v69, v73
	;; [unrolled: 1-line block ×3, first 2 shown]
	v_sub_f16_e32 v39, v74, v73
	v_sub_f16_e32 v98, v75, v47
	v_add_f16_e32 v6, v6, v75
	v_add_f16_e32 v37, v74, v75
	v_sub_f16_e32 v97, v45, v82
	v_add_f16_e32 v98, v39, v98
	v_add_f16_e32 v39, v73, v47
	;; [unrolled: 1-line block ×3, first 2 shown]
	s_waitcnt vmcnt(0)
	v_mul_f16_sdwa v6, v65, v77 dst_sel:DWORD dst_unused:UNUSED_PAD src0_sel:DWORD src1_sel:WORD_1
	v_fma_f16 v85, v37, -0.5, v69
	v_fma_f16 v99, v39, -0.5, v69
	v_fma_f16 v69, v49, v77, -v6
	v_lshlrev_b32_e32 v6, 2, v14
	v_lshlrev_b64 v[47:48], 2, v[6:7]
	v_fma_f16 v36, v42, s4, v36
	v_add_co_u32_e32 v47, vcc, s8, v47
	v_addc_co_u32_e32 v48, vcc, v30, v48, vcc
	global_load_dwordx4 v[72:75], v[47:48], off offset:448
	v_fma_f16 v37, v86, s5, v85
	v_fma_f16 v42, v42, s4, v43
	;; [unrolled: 1-line block ×9, first 2 shown]
	v_mul_f16_sdwa v47, v67, v80 dst_sel:DWORD dst_unused:UNUSED_PAD src0_sel:DWORD src1_sel:WORD_1
	v_fma_f16 v37, v76, s4, v37
	v_fma_f16 v39, v86, s6, v39
	;; [unrolled: 1-line block ×3, first 2 shown]
	ds_read_u16 v86, v64
	v_fma_f16 v43, v76, s4, v43
	v_mul_f16_sdwa v6, v66, v78 dst_sel:DWORD dst_unused:UNUSED_PAD src0_sel:DWORD src1_sel:WORD_1
	ds_read_u16 v82, v16 offset:1020
	s_waitcnt lgkmcnt(2)
	v_fma_f16 v76, v81, v80, -v47
	v_mul_f16_sdwa v47, v68, v79 dst_sel:DWORD dst_unused:UNUSED_PAD src0_sel:DWORD src1_sel:WORD_1
	v_fma_f16 v6, v46, v78, -v6
	v_fma_f16 v83, v93, v79, -v47
	v_sub_f16_e32 v14, v69, v6
	v_sub_f16_e32 v47, v76, v83
	v_add_f16_e32 v85, v14, v47
	v_add_f16_e32 v14, v6, v83
	v_fma_f16 v97, v14, -0.5, v70
	v_mul_f16_sdwa v14, v49, v77 dst_sel:DWORD dst_unused:UNUSED_PAD src0_sel:DWORD src1_sel:WORD_1
	v_mul_f16_sdwa v46, v46, v78 dst_sel:DWORD dst_unused:UNUSED_PAD src0_sel:DWORD src1_sel:WORD_1
	v_fma_f16 v77, v65, v77, v14
	v_mul_f16_sdwa v14, v81, v80 dst_sel:DWORD dst_unused:UNUSED_PAD src0_sel:DWORD src1_sel:WORD_1
	v_fma_f16 v78, v66, v78, v46
	;; [unrolled: 2-line block ×3, first 2 shown]
	v_fma_f16 v68, v68, v79, v46
	v_sub_f16_e32 v46, v77, v78
	v_sub_f16_e32 v47, v80, v68
	v_add_f16_e32 v67, v46, v47
	v_sub_f16_e32 v47, v6, v69
	v_sub_f16_e32 v48, v83, v76
	v_add_f16_e32 v49, v47, v48
	v_add_f16_e32 v47, v69, v76
	v_sub_f16_e32 v66, v78, v68
	v_fma_f16 v64, v47, -0.5, v70
	v_sub_f16_e32 v65, v77, v80
	v_add_f16_e32 v46, v78, v68
	v_fma_f16 v47, v66, s5, v64
	v_fma_f16 v64, v66, s0, v64
	;; [unrolled: 1-line block ×3, first 2 shown]
	v_fma_f16 v79, v46, -0.5, v63
	v_sub_f16_e32 v81, v69, v76
	v_fma_f16 v47, v65, s1, v47
	v_fma_f16 v64, v65, s6, v64
	;; [unrolled: 1-line block ×5, first 2 shown]
	v_sub_f16_e32 v93, v6, v83
	v_fma_f16 v65, v66, s6, v65
	v_fma_f16 v66, v81, s0, v79
	;; [unrolled: 1-line block ×6, first 2 shown]
	v_add_f16_e32 v67, v69, v70
	ds_read_u16 v70, v16 offset:986
	v_add_f16_e32 v6, v6, v67
	v_add_f16_e32 v6, v83, v6
	;; [unrolled: 1-line block ×4, first 2 shown]
	v_fma_f16 v39, v98, s4, v39
	v_fma_f16 v41, v98, s4, v41
	v_sub_f16_e32 v48, v78, v77
	v_sub_f16_e32 v98, v68, v80
	v_add_f16_e32 v6, v6, v78
	v_add_f16_e32 v98, v48, v98
	;; [unrolled: 1-line block ×4, first 2 shown]
	v_fma_f16 v99, v48, -0.5, v63
	v_add_f16_e32 v63, v80, v6
	v_lshlrev_b32_e32 v6, 2, v12
	v_lshlrev_b64 v[68:69], 2, v[6:7]
	s_waitcnt vmcnt(0)
	v_mul_f16_sdwa v6, v59, v72 dst_sel:DWORD dst_unused:UNUSED_PAD src0_sel:DWORD src1_sel:WORD_1
	v_add_co_u32_e32 v68, vcc, s8, v68
	v_addc_co_u32_e32 v69, vcc, v30, v69, vcc
	global_load_dwordx4 v[76:79], v[68:69], off offset:448
	v_mul_f16_sdwa v12, v60, v73 dst_sel:DWORD dst_unused:UNUSED_PAD src0_sel:DWORD src1_sel:WORD_1
	v_mul_f16_sdwa v69, v61, v75 dst_sel:DWORD dst_unused:UNUSED_PAD src0_sel:DWORD src1_sel:WORD_1
	;; [unrolled: 1-line block ×3, first 2 shown]
	v_fma_f16 v47, v49, s4, v47
	v_fma_f16 v48, v93, s0, v99
	;; [unrolled: 1-line block ×4, first 2 shown]
	v_fma_f16 v6, v90, v72, -v6
	v_fma_f16 v12, v71, v73, -v12
	s_waitcnt lgkmcnt(1)
	v_fma_f16 v69, v82, v75, -v69
	v_fma_f16 v80, v94, v74, -v80
	v_mul_f16_sdwa v83, v90, v72 dst_sel:DWORD dst_unused:UNUSED_PAD src0_sel:DWORD src1_sel:WORD_1
	v_fma_f16 v48, v81, s6, v48
	v_fma_f16 v64, v81, s1, v64
	v_sub_f16_e32 v68, v6, v12
	v_sub_f16_e32 v81, v69, v80
	v_fma_f16 v72, v59, v72, v83
	v_mul_f16_sdwa v59, v82, v75 dst_sel:DWORD dst_unused:UNUSED_PAD src0_sel:DWORD src1_sel:WORD_1
	v_mul_f16_sdwa v71, v71, v73 dst_sel:DWORD dst_unused:UNUSED_PAD src0_sel:DWORD src1_sel:WORD_1
	v_add_f16_e32 v68, v68, v81
	v_add_f16_e32 v81, v12, v80
	v_fma_f16 v75, v61, v75, v59
	v_fma_f16 v71, v60, v73, v71
	v_mul_f16_sdwa v60, v94, v74 dst_sel:DWORD dst_unused:UNUSED_PAD src0_sel:DWORD src1_sel:WORD_1
	v_fma_f16 v81, v81, -0.5, v86
	v_sub_f16_e32 v59, v72, v75
	v_fma_f16 v73, v62, v74, v60
	v_fma_f16 v61, v59, s0, v81
	v_sub_f16_e32 v60, v71, v73
	v_fma_f16 v61, v60, s1, v61
	v_fma_f16 v74, v68, s4, v61
	v_sub_f16_e32 v61, v72, v71
	v_sub_f16_e32 v62, v75, v73
	v_add_f16_e32 v61, v61, v62
	v_add_f16_e32 v62, v71, v73
	v_fma_f16 v62, v62, -0.5, v57
	v_sub_f16_e32 v82, v6, v69
	v_fma_f16 v14, v85, s4, v14
	v_fma_f16 v65, v85, s4, v65
	;; [unrolled: 1-line block ×3, first 2 shown]
	v_sub_f16_e32 v85, v12, v80
	v_fma_f16 v81, v59, s5, v81
	v_fma_f16 v62, v82, s0, v62
	;; [unrolled: 1-line block ×8, first 2 shown]
	v_sub_f16_e32 v61, v12, v6
	v_sub_f16_e32 v62, v80, v69
	v_add_f16_e32 v61, v61, v62
	v_add_f16_e32 v62, v6, v69
	;; [unrolled: 1-line block ×5, first 2 shown]
	v_fma_f16 v62, v62, -0.5, v86
	v_add_f16_e32 v69, v69, v6
	v_sub_f16_e32 v6, v71, v72
	v_sub_f16_e32 v12, v73, v75
	v_fma_f16 v90, v60, s5, v62
	v_fma_f16 v60, v60, s0, v62
	v_add_f16_e32 v12, v6, v12
	v_add_f16_e32 v6, v72, v75
	v_fma_f16 v90, v59, s1, v90
	v_fma_f16 v59, v59, s6, v60
	v_fma_f16 v6, v6, -0.5, v57
	v_fma_f16 v93, v61, s4, v59
	v_fma_f16 v59, v85, s0, v6
	;; [unrolled: 1-line block ×3, first 2 shown]
	v_lshlrev_b32_e32 v6, 2, v8
	v_lshlrev_b64 v[6:7], 2, v[6:7]
	v_fma_f16 v59, v82, s6, v59
	v_add_co_u32_e32 v6, vcc, s8, v6
	v_addc_co_u32_e32 v7, vcc, v30, v7, vcc
	v_fma_f16 v90, v61, s4, v90
	v_fma_f16 v80, v12, s4, v59
	global_load_dwordx4 v[59:62], v[6:7], off offset:448
	v_fma_f16 v6, v82, s1, v85
	v_fma_f16 v30, v12, s4, v6
	v_add_f16_e32 v6, v57, v72
	v_add_f16_e32 v6, v6, v71
	;; [unrolled: 1-line block ×4, first 2 shown]
	s_waitcnt vmcnt(1)
	v_mul_f16_sdwa v6, v54, v76 dst_sel:DWORD dst_unused:UNUSED_PAD src0_sel:DWORD src1_sel:WORD_1
	v_mul_f16_sdwa v7, v55, v77 dst_sel:DWORD dst_unused:UNUSED_PAD src0_sel:DWORD src1_sel:WORD_1
	;; [unrolled: 1-line block ×4, first 2 shown]
	v_fma_f16 v6, v91, v76, -v6
	v_fma_f16 v7, v87, v77, -v7
	s_waitcnt lgkmcnt(0)
	v_fma_f16 v71, v70, v79, -v71
	v_fma_f16 v72, v95, v78, -v72
	v_mul_f16_sdwa v75, v91, v76 dst_sel:DWORD dst_unused:UNUSED_PAD src0_sel:DWORD src1_sel:WORD_1
	v_fma_f16 v54, v54, v76, v75
	v_mul_f16_sdwa v70, v70, v79 dst_sel:DWORD dst_unused:UNUSED_PAD src0_sel:DWORD src1_sel:WORD_1
	v_mul_f16_sdwa v76, v87, v77 dst_sel:DWORD dst_unused:UNUSED_PAD src0_sel:DWORD src1_sel:WORD_1
	v_sub_f16_e32 v86, v7, v6
	v_sub_f16_e32 v87, v72, v71
	;; [unrolled: 1-line block ×3, first 2 shown]
	v_fma_f16 v56, v56, v79, v70
	v_fma_f16 v55, v55, v77, v76
	v_mul_f16_sdwa v76, v95, v78 dst_sel:DWORD dst_unused:UNUSED_PAD src0_sel:DWORD src1_sel:WORD_1
	v_sub_f16_e32 v79, v6, v71
	v_add_f16_e32 v86, v86, v87
	v_add_f16_e32 v87, v6, v71
	;; [unrolled: 1-line block ×3, first 2 shown]
	v_sub_f16_e32 v73, v71, v72
	v_fma_f16 v58, v58, v78, v76
	v_add_f16_e32 v6, v7, v6
	ds_read_u16 v16, v16 offset:952
	v_add_f16_e32 v12, v12, v73
	v_add_f16_e32 v73, v7, v72
	v_sub_f16_e32 v76, v55, v58
	v_fma_f16 v87, v87, -0.5, v89
	v_add_f16_e32 v6, v72, v6
	v_fma_f16 v73, v73, -0.5, v89
	v_sub_f16_e32 v70, v54, v56
	v_sub_f16_e32 v77, v54, v55
	;; [unrolled: 1-line block ×3, first 2 shown]
	v_fma_f16 v91, v76, s5, v87
	v_fma_f16 v87, v76, s0, v87
	v_add_f16_e32 v71, v71, v6
	v_add_f16_e32 v6, v53, v54
	v_fma_f16 v75, v70, s0, v73
	v_add_f16_e32 v77, v77, v78
	v_add_f16_e32 v78, v55, v58
	v_fma_f16 v91, v70, s1, v91
	v_sub_f16_e32 v94, v55, v54
	v_sub_f16_e32 v95, v58, v56
	v_fma_f16 v87, v70, s6, v87
	v_fma_f16 v70, v70, s5, v73
	v_add_f16_e32 v6, v6, v55
	v_fma_f16 v75, v76, s1, v75
	v_fma_f16 v78, v78, -0.5, v53
	v_add_f16_e32 v94, v94, v95
	v_add_f16_e32 v95, v54, v56
	v_fma_f16 v70, v76, s6, v70
	v_add_f16_e32 v6, v6, v58
	v_fma_f16 v75, v12, s4, v75
	v_fma_f16 v82, v79, s5, v78
	v_sub_f16_e32 v85, v7, v72
	v_fma_f16 v95, v95, -0.5, v53
	v_fma_f16 v70, v12, s4, v70
	v_fma_f16 v12, v79, s0, v78
	v_add_f16_e32 v53, v56, v6
	v_fma_f16 v82, v85, s6, v82
	v_fma_f16 v12, v85, s1, v12
	;; [unrolled: 1-line block ×10, first 2 shown]
	v_add_co_u32_e32 v4, vcc, s12, v4
	s_waitcnt vmcnt(0)
	v_mul_f16_sdwa v6, v23, v59 dst_sel:DWORD dst_unused:UNUSED_PAD src0_sel:DWORD src1_sel:WORD_1
	v_mul_f16_sdwa v7, v51, v60 dst_sel:DWORD dst_unused:UNUSED_PAD src0_sel:DWORD src1_sel:WORD_1
	;; [unrolled: 1-line block ×5, first 2 shown]
	v_fma_f16 v6, v92, v59, -v6
	v_fma_f16 v7, v88, v60, -v7
	s_waitcnt lgkmcnt(0)
	v_fma_f16 v54, v16, v62, -v54
	v_fma_f16 v55, v96, v61, -v55
	v_fma_f16 v23, v23, v59, v58
	v_mul_f16_sdwa v59, v88, v60 dst_sel:DWORD dst_unused:UNUSED_PAD src0_sel:DWORD src1_sel:WORD_1
	v_fma_f16 v51, v51, v60, v59
	v_mul_f16_sdwa v59, v96, v61 dst_sel:DWORD dst_unused:UNUSED_PAD src0_sel:DWORD src1_sel:WORD_1
	v_sub_f16_e32 v77, v7, v6
	v_sub_f16_e32 v78, v55, v54
	;; [unrolled: 1-line block ×4, first 2 shown]
	v_mul_f16_sdwa v16, v16, v62 dst_sel:DWORD dst_unused:UNUSED_PAD src0_sel:DWORD src1_sel:WORD_1
	v_fma_f16 v52, v52, v61, v59
	v_add_f16_e32 v77, v77, v78
	v_add_f16_e32 v78, v6, v54
	;; [unrolled: 1-line block ×4, first 2 shown]
	v_fma_f16 v16, v50, v62, v16
	v_sub_f16_e32 v59, v51, v52
	v_fma_f16 v78, v78, -0.5, v84
	v_fma_f16 v56, v56, -0.5, v84
	v_sub_f16_e32 v50, v23, v16
	v_sub_f16_e32 v60, v23, v51
	;; [unrolled: 1-line block ×3, first 2 shown]
	v_fma_f16 v79, v59, s5, v78
	v_fma_f16 v78, v59, s0, v78
	;; [unrolled: 1-line block ×3, first 2 shown]
	v_add_f16_e32 v60, v60, v61
	v_add_f16_e32 v61, v51, v52
	v_fma_f16 v79, v50, s1, v79
	v_sub_f16_e32 v85, v51, v23
	v_sub_f16_e32 v88, v52, v16
	v_fma_f16 v78, v50, s6, v78
	v_fma_f16 v50, v50, s5, v56
	;; [unrolled: 1-line block ×3, first 2 shown]
	v_fma_f16 v61, v61, -0.5, v22
	v_sub_f16_e32 v62, v6, v54
	v_add_f16_e32 v85, v85, v88
	v_add_f16_e32 v88, v23, v16
	v_fma_f16 v50, v59, s6, v50
	v_fma_f16 v58, v12, s4, v58
	v_sub_f16_e32 v76, v7, v55
	v_fma_f16 v88, v88, -0.5, v22
	v_fma_f16 v56, v12, s4, v50
	v_fma_f16 v12, v62, s0, v61
	;; [unrolled: 1-line block ×6, first 2 shown]
	v_add_f16_e32 v6, v6, v84
	v_fma_f16 v89, v76, s0, v88
	v_fma_f16 v78, v62, s1, v78
	;; [unrolled: 1-line block ×3, first 2 shown]
	v_add_f16_e32 v12, v7, v6
	v_mad_u64_u32 v[6:7], s[0:1], s2, v8, 0
	v_add_f16_e32 v12, v55, v12
	v_add_f16_e32 v54, v54, v12
	v_add_f16_e32 v12, v22, v23
	v_mad_u64_u32 v[22:23], s[0:1], s3, v8, v[7:8]
	v_add_f16_e32 v7, v12, v51
	v_add_f16_e32 v7, v7, v52
	v_add_u32_e32 v50, 0x77, v8
	v_add_f16_e32 v16, v16, v7
	v_mov_b32_e32 v7, v22
	v_mad_u64_u32 v[22:23], s[0:1], s2, v50, 0
	v_mov_b32_e32 v12, s13
	v_addc_co_u32_e32 v5, vcc, v12, v5, vcc
	v_mov_b32_e32 v12, v23
	v_mad_u64_u32 v[50:51], s[0:1], s3, v50, v[12:13]
	v_lshlrev_b64 v[6:7], 2, v[6:7]
	v_pack_b32_f16 v12, v16, v54
	v_add_co_u32_e32 v6, vcc, v4, v6
	v_addc_co_u32_e32 v7, vcc, v5, v7, vcc
	v_mov_b32_e32 v23, v50
	v_add_u32_e32 v16, 0xee, v8
	global_store_dword v[6:7], v12, off
	v_lshlrev_b64 v[6:7], 2, v[22:23]
	v_mad_u64_u32 v[22:23], s[0:1], s2, v16, 0
	v_add_co_u32_e32 v6, vcc, v4, v6
	v_mov_b32_e32 v12, v23
	v_mad_u64_u32 v[50:51], s[0:1], s3, v16, v[12:13]
	v_add_u32_e32 v16, 0x165, v8
	v_mad_u64_u32 v[51:52], s[0:1], s2, v16, 0
	v_addc_co_u32_e32 v7, vcc, v5, v7, vcc
	v_pack_b32_f16 v54, v59, v56
	v_mov_b32_e32 v23, v50
	v_mov_b32_e32 v12, v52
	global_store_dword v[6:7], v54, off
	v_lshlrev_b64 v[6:7], 2, v[22:23]
	v_mad_u64_u32 v[22:23], s[0:1], s3, v16, v[12:13]
	v_add_u32_e32 v16, 0x1dc, v8
	v_fma_f16 v78, v85, s4, v78
	v_mov_b32_e32 v52, v22
	v_mad_u64_u32 v[22:23], s[0:1], s2, v16, 0
	v_add_co_u32_e32 v6, vcc, v4, v6
	v_addc_co_u32_e32 v7, vcc, v5, v7, vcc
	v_pack_b32_f16 v12, v78, v77
	global_store_dword v[6:7], v12, off
	v_mov_b32_e32 v12, v23
	v_lshlrev_b64 v[6:7], 2, v[51:52]
	v_mad_u64_u32 v[50:51], s[0:1], s3, v16, v[12:13]
	v_fma_f16 v89, v62, s6, v89
	v_fma_f16 v72, v62, s5, v61
	;; [unrolled: 1-line block ×3, first 2 shown]
	v_add_co_u32_e32 v6, vcc, v4, v6
	v_fma_f16 v72, v76, s6, v72
	v_addc_co_u32_e32 v7, vcc, v5, v7, vcc
	v_pack_b32_f16 v12, v89, v79
	v_mov_b32_e32 v23, v50
	v_fma_f16 v48, v98, s4, v48
	v_fma_f16 v64, v98, s4, v64
	;; [unrolled: 1-line block ×5, first 2 shown]
	global_store_dword v[6:7], v12, off
	v_lshlrev_b64 v[6:7], 2, v[22:23]
	v_mad_u64_u32 v[22:23], s[4:5], s2, v11, 0
	v_add_co_u32_e32 v6, vcc, v4, v6
	v_mov_b32_e32 v12, v23
	v_mad_u64_u32 v[11:12], s[4:5], s3, v11, v[12:13]
	v_add_u32_e32 v12, 0x88, v8
	v_mad_u64_u32 v[50:51], s[4:5], s2, v12, 0
	v_addc_co_u32_e32 v7, vcc, v5, v7, vcc
	v_pack_b32_f16 v16, v72, v58
	v_mov_b32_e32 v23, v11
	v_mov_b32_e32 v11, v51
	global_store_dword v[6:7], v16, off
	v_lshlrev_b64 v[6:7], 2, v[22:23]
	v_mad_u64_u32 v[11:12], s[4:5], s3, v12, v[11:12]
	v_add_co_u32_e32 v6, vcc, v4, v6
	v_addc_co_u32_e32 v7, vcc, v5, v7, vcc
	v_pack_b32_f16 v12, v53, v71
	v_add_u32_e32 v16, 0xff, v8
	global_store_dword v[6:7], v12, off
	v_mov_b32_e32 v51, v11
	v_mad_u64_u32 v[11:12], s[4:5], s2, v16, 0
	v_lshlrev_b64 v[6:7], 2, v[50:51]
	v_pack_b32_f16 v52, v73, v70
	v_mad_u64_u32 v[22:23], s[4:5], s3, v16, v[12:13]
	v_add_u32_e32 v16, 0x176, v8
	v_mad_u64_u32 v[50:51], s[4:5], s2, v16, 0
	v_add_co_u32_e32 v6, vcc, v4, v6
	v_addc_co_u32_e32 v7, vcc, v5, v7, vcc
	v_mov_b32_e32 v12, v22
	global_store_dword v[6:7], v52, off
	v_lshlrev_b64 v[6:7], 2, v[11:12]
	v_mov_b32_e32 v11, v51
	v_mad_u64_u32 v[11:12], s[4:5], s3, v16, v[11:12]
	v_add_co_u32_e32 v6, vcc, v4, v6
	v_addc_co_u32_e32 v7, vcc, v5, v7, vcc
	v_pack_b32_f16 v12, v87, v86
	v_add_u32_e32 v16, 0x1ed, v8
	global_store_dword v[6:7], v12, off
	v_mov_b32_e32 v51, v11
	v_mad_u64_u32 v[11:12], s[4:5], s2, v16, 0
	s_mov_b32 s1, 0x44d72045
	v_lshlrev_b64 v[6:7], 2, v[50:51]
	v_mad_u64_u32 v[22:23], s[4:5], s3, v16, v[12:13]
	v_mul_hi_u32 v16, v10, s1
	v_add_co_u32_e32 v6, vcc, v4, v6
	v_addc_co_u32_e32 v7, vcc, v5, v7, vcc
	v_pack_b32_f16 v50, v97, v91
	v_mov_b32_e32 v12, v22
	s_movk_i32 s0, 0x1dc
	global_store_dword v[6:7], v50, off
	v_lshlrev_b64 v[6:7], 2, v[11:12]
	v_lshrrev_b32_e32 v11, 5, v16
	v_mad_u32_u24 v16, v11, s0, v10
	v_mad_u64_u32 v[10:11], s[4:5], s2, v16, 0
	v_add_co_u32_e32 v6, vcc, v4, v6
	v_mad_u64_u32 v[11:12], s[4:5], s3, v16, v[11:12]
	v_add_u32_e32 v12, 0x77, v16
	v_mad_u64_u32 v[22:23], s[4:5], s2, v12, 0
	v_addc_co_u32_e32 v7, vcc, v5, v7, vcc
	v_pack_b32_f16 v50, v82, v75
	global_store_dword v[6:7], v50, off
	v_lshlrev_b64 v[6:7], 2, v[10:11]
	v_mov_b32_e32 v10, v23
	v_mad_u64_u32 v[10:11], s[4:5], s3, v12, v[10:11]
	v_add_co_u32_e32 v6, vcc, v4, v6
	v_addc_co_u32_e32 v7, vcc, v5, v7, vcc
	v_pack_b32_f16 v11, v57, v69
	v_add_u32_e32 v12, 0xee, v16
	global_store_dword v[6:7], v11, off
	v_mov_b32_e32 v23, v10
	v_mad_u64_u32 v[10:11], s[4:5], s2, v12, 0
	v_lshlrev_b64 v[6:7], 2, v[22:23]
	v_pack_b32_f16 v50, v81, v68
	v_mad_u64_u32 v[11:12], s[4:5], s3, v12, v[11:12]
	v_add_u32_e32 v12, 0x165, v16
	v_mad_u64_u32 v[22:23], s[4:5], s2, v12, 0
	v_add_co_u32_e32 v6, vcc, v4, v6
	v_addc_co_u32_e32 v7, vcc, v5, v7, vcc
	global_store_dword v[6:7], v50, off
	v_lshlrev_b64 v[6:7], 2, v[10:11]
	v_mov_b32_e32 v10, v23
	v_mad_u64_u32 v[10:11], s[4:5], s3, v12, v[10:11]
	v_add_co_u32_e32 v6, vcc, v4, v6
	v_addc_co_u32_e32 v7, vcc, v5, v7, vcc
	v_pack_b32_f16 v11, v30, v93
	v_add_u32_e32 v12, 0x1dc, v16
	global_store_dword v[6:7], v11, off
	v_mov_b32_e32 v23, v10
	v_mad_u64_u32 v[10:11], s[4:5], s2, v12, 0
	v_lshlrev_b64 v[6:7], 2, v[22:23]
	v_mul_hi_u32 v16, v9, s1
	v_mad_u64_u32 v[11:12], s[4:5], s3, v12, v[11:12]
	v_add_co_u32_e32 v6, vcc, v4, v6
	v_addc_co_u32_e32 v7, vcc, v5, v7, vcc
	v_pack_b32_f16 v12, v80, v90
	global_store_dword v[6:7], v12, off
	v_lshlrev_b64 v[6:7], 2, v[10:11]
	v_lshrrev_b32_e32 v10, 5, v16
	v_mad_u32_u24 v16, v10, s0, v9
	v_mad_u64_u32 v[9:10], s[4:5], s2, v16, 0
	v_add_u32_e32 v23, 0x77, v16
	v_add_co_u32_e32 v6, vcc, v4, v6
	v_mad_u64_u32 v[10:11], s[4:5], s3, v16, v[10:11]
	v_mad_u64_u32 v[11:12], s[4:5], s2, v23, 0
	v_addc_co_u32_e32 v7, vcc, v5, v7, vcc
	v_pack_b32_f16 v22, v83, v74
	global_store_dword v[6:7], v22, off
	v_lshlrev_b64 v[6:7], 2, v[9:10]
	v_mov_b32_e32 v9, v12
	v_mad_u64_u32 v[9:10], s[4:5], s3, v23, v[9:10]
	v_add_co_u32_e32 v6, vcc, v4, v6
	v_addc_co_u32_e32 v7, vcc, v5, v7, vcc
	v_pack_b32_f16 v10, v63, v67
	v_mov_b32_e32 v12, v9
	global_store_dword v[6:7], v10, off
	v_lshlrev_b64 v[6:7], 2, v[11:12]
	v_add_u32_e32 v11, 0xee, v16
	v_mad_u64_u32 v[9:10], s[4:5], s2, v11, 0
	v_add_u32_e32 v23, 0x165, v16
	v_add_co_u32_e32 v6, vcc, v4, v6
	v_mad_u64_u32 v[10:11], s[4:5], s3, v11, v[10:11]
	v_mad_u64_u32 v[11:12], s[4:5], s2, v23, 0
	v_addc_co_u32_e32 v7, vcc, v5, v7, vcc
	v_pack_b32_f16 v22, v66, v65
	global_store_dword v[6:7], v22, off
	v_lshlrev_b64 v[6:7], 2, v[9:10]
	v_mov_b32_e32 v9, v12
	v_mad_u64_u32 v[9:10], s[4:5], s3, v23, v[9:10]
	v_add_co_u32_e32 v6, vcc, v4, v6
	v_addc_co_u32_e32 v7, vcc, v5, v7, vcc
	v_pack_b32_f16 v10, v64, v49
	v_mov_b32_e32 v12, v9
	global_store_dword v[6:7], v10, off
	v_lshlrev_b64 v[6:7], 2, v[11:12]
	v_add_u32_e32 v11, 0x1dc, v16
	v_mad_u64_u32 v[9:10], s[4:5], s2, v11, 0
	v_add_u32_e32 v8, 0x44, v8
	v_add_co_u32_e32 v6, vcc, v4, v6
	v_mad_u64_u32 v[10:11], s[4:5], s3, v11, v[10:11]
	v_mul_hi_u32 v11, v8, s1
	v_addc_co_u32_e32 v7, vcc, v5, v7, vcc
	v_pack_b32_f16 v12, v48, v47
	global_store_dword v[6:7], v12, off
	v_lshlrev_b64 v[6:7], 2, v[9:10]
	v_lshrrev_b32_e32 v9, 5, v11
	v_mad_u32_u24 v12, v9, s0, v8
	v_mad_u64_u32 v[8:9], s[4:5], s2, v12, 0
	v_add_u32_e32 v16, 0x77, v12
	v_add_co_u32_e32 v6, vcc, v4, v6
	v_mad_u64_u32 v[9:10], s[4:5], s3, v12, v[9:10]
	v_mad_u64_u32 v[10:11], s[4:5], s2, v16, 0
	v_addc_co_u32_e32 v7, vcc, v5, v7, vcc
	v_pack_b32_f16 v14, v46, v14
	global_store_dword v[6:7], v14, off
	v_lshlrev_b64 v[6:7], 2, v[8:9]
	v_mov_b32_e32 v8, v11
	v_mad_u64_u32 v[8:9], s[4:5], s3, v16, v[8:9]
	v_add_co_u32_e32 v6, vcc, v4, v6
	v_addc_co_u32_e32 v7, vcc, v5, v7, vcc
	v_pack_b32_f16 v9, v45, v44
	v_mov_b32_e32 v11, v8
	global_store_dword v[6:7], v9, off
	v_lshlrev_b64 v[6:7], 2, v[10:11]
	v_add_u32_e32 v10, 0xee, v12
	v_mad_u64_u32 v[8:9], s[4:5], s2, v10, 0
	v_add_u32_e32 v16, 0x165, v12
	v_add_co_u32_e32 v6, vcc, v4, v6
	v_mad_u64_u32 v[9:10], s[4:5], s3, v10, v[9:10]
	v_mad_u64_u32 v[10:11], s[4:5], s2, v16, 0
	v_addc_co_u32_e32 v7, vcc, v5, v7, vcc
	v_pack_b32_f16 v14, v43, v42
	global_store_dword v[6:7], v14, off
	v_lshlrev_b64 v[6:7], 2, v[8:9]
	v_mov_b32_e32 v8, v11
	v_mad_u64_u32 v[8:9], s[4:5], s3, v16, v[8:9]
	v_add_co_u32_e32 v6, vcc, v4, v6
	v_addc_co_u32_e32 v7, vcc, v5, v7, vcc
	v_pack_b32_f16 v9, v41, v40
	v_mov_b32_e32 v11, v8
	global_store_dword v[6:7], v9, off
	v_lshlrev_b64 v[6:7], 2, v[10:11]
	v_add_u32_e32 v10, 0x1dc, v12
	v_mad_u64_u32 v[8:9], s[4:5], s2, v10, 0
	v_mul_hi_u32 v11, v20, s1
	v_add_co_u32_e32 v6, vcc, v4, v6
	v_mad_u64_u32 v[9:10], s[4:5], s3, v10, v[9:10]
	v_addc_co_u32_e32 v7, vcc, v5, v7, vcc
	v_pack_b32_f16 v10, v39, v38
	global_store_dword v[6:7], v10, off
	v_lshlrev_b64 v[6:7], 2, v[8:9]
	v_lshrrev_b32_e32 v8, 5, v11
	v_mad_u32_u24 v12, v8, s0, v20
	v_mad_u64_u32 v[8:9], s[4:5], s2, v12, 0
	v_add_u32_e32 v16, 0x77, v12
	v_add_co_u32_e32 v6, vcc, v4, v6
	v_mad_u64_u32 v[9:10], s[4:5], s3, v12, v[9:10]
	v_mad_u64_u32 v[10:11], s[4:5], s2, v16, 0
	v_addc_co_u32_e32 v7, vcc, v5, v7, vcc
	v_pack_b32_f16 v14, v37, v36
	global_store_dword v[6:7], v14, off
	v_lshlrev_b64 v[6:7], 2, v[8:9]
	v_mov_b32_e32 v8, v11
	v_mad_u64_u32 v[8:9], s[4:5], s3, v16, v[8:9]
	v_add_co_u32_e32 v6, vcc, v4, v6
	v_addc_co_u32_e32 v7, vcc, v5, v7, vcc
	v_pack_b32_f16 v9, v34, v33
	v_mov_b32_e32 v11, v8
	global_store_dword v[6:7], v9, off
	v_lshlrev_b64 v[6:7], 2, v[10:11]
	v_add_u32_e32 v10, 0xee, v12
	v_mad_u64_u32 v[8:9], s[4:5], s2, v10, 0
	v_add_u32_e32 v16, 0x165, v12
	v_add_co_u32_e32 v6, vcc, v4, v6
	v_mad_u64_u32 v[9:10], s[4:5], s3, v10, v[9:10]
	v_mad_u64_u32 v[10:11], s[4:5], s2, v16, 0
	v_addc_co_u32_e32 v7, vcc, v5, v7, vcc
	v_pack_b32_f16 v14, v35, v32
	global_store_dword v[6:7], v14, off
	v_lshlrev_b64 v[6:7], 2, v[8:9]
	v_mov_b32_e32 v8, v11
	v_mad_u64_u32 v[8:9], s[4:5], s3, v16, v[8:9]
	v_add_co_u32_e32 v6, vcc, v4, v6
	v_addc_co_u32_e32 v7, vcc, v5, v7, vcc
	v_pack_b32_f16 v9, v15, v31
	v_mov_b32_e32 v11, v8
	global_store_dword v[6:7], v9, off
	v_lshlrev_b64 v[6:7], 2, v[10:11]
	v_add_u32_e32 v10, 0x1dc, v12
	v_mad_u64_u32 v[8:9], s[4:5], s2, v10, 0
	v_mul_hi_u32 v11, v19, s1
	v_add_co_u32_e32 v6, vcc, v4, v6
	v_mad_u64_u32 v[9:10], s[4:5], s3, v10, v[9:10]
	v_lshrrev_b32_e32 v10, 5, v11
	v_mad_u32_u24 v14, v10, s0, v19
	v_mad_u64_u32 v[10:11], s[0:1], s2, v14, 0
	v_addc_co_u32_e32 v7, vcc, v5, v7, vcc
	v_pack_b32_f16 v12, v29, v28
	global_store_dword v[6:7], v12, off
	v_lshlrev_b64 v[6:7], 2, v[8:9]
	v_mov_b32_e32 v8, v11
	v_mad_u64_u32 v[8:9], s[0:1], s3, v14, v[8:9]
	v_add_co_u32_e32 v6, vcc, v4, v6
	v_addc_co_u32_e32 v7, vcc, v5, v7, vcc
	v_pack_b32_f16 v9, v17, v13
	v_mov_b32_e32 v11, v8
	global_store_dword v[6:7], v9, off
	v_lshlrev_b64 v[6:7], 2, v[10:11]
	v_add_u32_e32 v10, 0x77, v14
	v_mad_u64_u32 v[8:9], s[0:1], s2, v10, 0
	v_add_u32_e32 v13, 0xee, v14
	v_add_co_u32_e32 v6, vcc, v4, v6
	v_mad_u64_u32 v[9:10], s[0:1], s3, v10, v[9:10]
	v_mad_u64_u32 v[10:11], s[0:1], s2, v13, 0
	v_addc_co_u32_e32 v7, vcc, v5, v7, vcc
	v_pack_b32_f16 v12, v27, v26
	global_store_dword v[6:7], v12, off
	v_lshlrev_b64 v[6:7], 2, v[8:9]
	v_mov_b32_e32 v8, v11
	v_mad_u64_u32 v[8:9], s[0:1], s3, v13, v[8:9]
	v_add_co_u32_e32 v6, vcc, v4, v6
	v_addc_co_u32_e32 v7, vcc, v5, v7, vcc
	v_pack_b32_f16 v9, v25, v24
	v_mov_b32_e32 v11, v8
	global_store_dword v[6:7], v9, off
	v_lshlrev_b64 v[6:7], 2, v[10:11]
	v_add_u32_e32 v10, 0x165, v14
	v_mad_u64_u32 v[8:9], s[0:1], s2, v10, 0
	v_pack_b32_f16 v12, v21, v3
	v_add_u32_e32 v13, 0x1dc, v14
	v_mov_b32_e32 v3, v9
	v_mad_u64_u32 v[9:10], s[0:1], s3, v10, v[3:4]
	v_mad_u64_u32 v[10:11], s[0:1], s2, v13, 0
	v_add_co_u32_e32 v6, vcc, v4, v6
	v_addc_co_u32_e32 v7, vcc, v5, v7, vcc
	v_mov_b32_e32 v3, v11
	global_store_dword v[6:7], v12, off
	v_lshlrev_b64 v[6:7], 2, v[8:9]
	v_mad_u64_u32 v[8:9], s[0:1], s3, v13, v[3:4]
	v_add_co_u32_e32 v6, vcc, v4, v6
	v_addc_co_u32_e32 v7, vcc, v5, v7, vcc
	v_mov_b32_e32 v11, v8
	global_store_dword v[6:7], v2, off
	v_lshlrev_b64 v[2:3], 2, v[10:11]
	v_add_co_u32_e32 v2, vcc, v4, v2
	v_addc_co_u32_e32 v3, vcc, v5, v3, vcc
	global_store_dword v[2:3], v0, off
.LBB0_22:
	s_endpgm
	.section	.rodata,"a",@progbits
	.p2align	6, 0x0
	.amdhsa_kernel fft_rtc_back_len595_factors_7_17_5_wgs_51_tpt_17_halfLds_half_ip_CI_sbrr_dirReg
		.amdhsa_group_segment_fixed_size 0
		.amdhsa_private_segment_fixed_size 0
		.amdhsa_kernarg_size 88
		.amdhsa_user_sgpr_count 6
		.amdhsa_user_sgpr_private_segment_buffer 1
		.amdhsa_user_sgpr_dispatch_ptr 0
		.amdhsa_user_sgpr_queue_ptr 0
		.amdhsa_user_sgpr_kernarg_segment_ptr 1
		.amdhsa_user_sgpr_dispatch_id 0
		.amdhsa_user_sgpr_flat_scratch_init 0
		.amdhsa_user_sgpr_private_segment_size 0
		.amdhsa_uses_dynamic_stack 0
		.amdhsa_system_sgpr_private_segment_wavefront_offset 0
		.amdhsa_system_sgpr_workgroup_id_x 1
		.amdhsa_system_sgpr_workgroup_id_y 0
		.amdhsa_system_sgpr_workgroup_id_z 0
		.amdhsa_system_sgpr_workgroup_info 0
		.amdhsa_system_vgpr_workitem_id 0
		.amdhsa_next_free_vgpr 188
		.amdhsa_next_free_sgpr 35
		.amdhsa_reserve_vcc 1
		.amdhsa_reserve_flat_scratch 0
		.amdhsa_float_round_mode_32 0
		.amdhsa_float_round_mode_16_64 0
		.amdhsa_float_denorm_mode_32 3
		.amdhsa_float_denorm_mode_16_64 3
		.amdhsa_dx10_clamp 1
		.amdhsa_ieee_mode 1
		.amdhsa_fp16_overflow 0
		.amdhsa_exception_fp_ieee_invalid_op 0
		.amdhsa_exception_fp_denorm_src 0
		.amdhsa_exception_fp_ieee_div_zero 0
		.amdhsa_exception_fp_ieee_overflow 0
		.amdhsa_exception_fp_ieee_underflow 0
		.amdhsa_exception_fp_ieee_inexact 0
		.amdhsa_exception_int_div_zero 0
	.end_amdhsa_kernel
	.text
.Lfunc_end0:
	.size	fft_rtc_back_len595_factors_7_17_5_wgs_51_tpt_17_halfLds_half_ip_CI_sbrr_dirReg, .Lfunc_end0-fft_rtc_back_len595_factors_7_17_5_wgs_51_tpt_17_halfLds_half_ip_CI_sbrr_dirReg
                                        ; -- End function
	.section	.AMDGPU.csdata,"",@progbits
; Kernel info:
; codeLenInByte = 30108
; NumSgprs: 39
; NumVgprs: 188
; ScratchSize: 0
; MemoryBound: 0
; FloatMode: 240
; IeeeMode: 1
; LDSByteSize: 0 bytes/workgroup (compile time only)
; SGPRBlocks: 4
; VGPRBlocks: 46
; NumSGPRsForWavesPerEU: 39
; NumVGPRsForWavesPerEU: 188
; Occupancy: 1
; WaveLimiterHint : 1
; COMPUTE_PGM_RSRC2:SCRATCH_EN: 0
; COMPUTE_PGM_RSRC2:USER_SGPR: 6
; COMPUTE_PGM_RSRC2:TRAP_HANDLER: 0
; COMPUTE_PGM_RSRC2:TGID_X_EN: 1
; COMPUTE_PGM_RSRC2:TGID_Y_EN: 0
; COMPUTE_PGM_RSRC2:TGID_Z_EN: 0
; COMPUTE_PGM_RSRC2:TIDIG_COMP_CNT: 0
	.type	__hip_cuid_50aacfd51f805ffd,@object ; @__hip_cuid_50aacfd51f805ffd
	.section	.bss,"aw",@nobits
	.globl	__hip_cuid_50aacfd51f805ffd
__hip_cuid_50aacfd51f805ffd:
	.byte	0                               ; 0x0
	.size	__hip_cuid_50aacfd51f805ffd, 1

	.ident	"AMD clang version 19.0.0git (https://github.com/RadeonOpenCompute/llvm-project roc-6.4.0 25133 c7fe45cf4b819c5991fe208aaa96edf142730f1d)"
	.section	".note.GNU-stack","",@progbits
	.addrsig
	.addrsig_sym __hip_cuid_50aacfd51f805ffd
	.amdgpu_metadata
---
amdhsa.kernels:
  - .args:
      - .actual_access:  read_only
        .address_space:  global
        .offset:         0
        .size:           8
        .value_kind:     global_buffer
      - .offset:         8
        .size:           8
        .value_kind:     by_value
      - .actual_access:  read_only
        .address_space:  global
        .offset:         16
        .size:           8
        .value_kind:     global_buffer
      - .actual_access:  read_only
        .address_space:  global
        .offset:         24
        .size:           8
        .value_kind:     global_buffer
      - .offset:         32
        .size:           8
        .value_kind:     by_value
      - .actual_access:  read_only
        .address_space:  global
        .offset:         40
        .size:           8
        .value_kind:     global_buffer
      - .actual_access:  read_only
        .address_space:  global
        .offset:         48
        .size:           8
        .value_kind:     global_buffer
      - .offset:         56
        .size:           4
        .value_kind:     by_value
      - .actual_access:  read_only
        .address_space:  global
        .offset:         64
        .size:           8
        .value_kind:     global_buffer
      - .actual_access:  read_only
        .address_space:  global
        .offset:         72
        .size:           8
        .value_kind:     global_buffer
      - .address_space:  global
        .offset:         80
        .size:           8
        .value_kind:     global_buffer
    .group_segment_fixed_size: 0
    .kernarg_segment_align: 8
    .kernarg_segment_size: 88
    .language:       OpenCL C
    .language_version:
      - 2
      - 0
    .max_flat_workgroup_size: 51
    .name:           fft_rtc_back_len595_factors_7_17_5_wgs_51_tpt_17_halfLds_half_ip_CI_sbrr_dirReg
    .private_segment_fixed_size: 0
    .sgpr_count:     39
    .sgpr_spill_count: 0
    .symbol:         fft_rtc_back_len595_factors_7_17_5_wgs_51_tpt_17_halfLds_half_ip_CI_sbrr_dirReg.kd
    .uniform_work_group_size: 1
    .uses_dynamic_stack: false
    .vgpr_count:     188
    .vgpr_spill_count: 0
    .wavefront_size: 64
amdhsa.target:   amdgcn-amd-amdhsa--gfx906
amdhsa.version:
  - 1
  - 2
...

	.end_amdgpu_metadata
